;; amdgpu-corpus repo=ROCm/rocBLAS kind=compiled arch=gfx906 opt=O3
	.amdgcn_target "amdgcn-amd-amdhsa--gfx906"
	.amdhsa_code_object_version 6
	.section	.text._ZL20rocblas_hbmvn_kernelILi64ELi16EPK19rocblas_complex_numIfES3_PS1_EvbiiT1_T2_lllS6_lllS5_T3_llli,"axG",@progbits,_ZL20rocblas_hbmvn_kernelILi64ELi16EPK19rocblas_complex_numIfES3_PS1_EvbiiT1_T2_lllS6_lllS5_T3_llli,comdat
	.globl	_ZL20rocblas_hbmvn_kernelILi64ELi16EPK19rocblas_complex_numIfES3_PS1_EvbiiT1_T2_lllS6_lllS5_T3_llli ; -- Begin function _ZL20rocblas_hbmvn_kernelILi64ELi16EPK19rocblas_complex_numIfES3_PS1_EvbiiT1_T2_lllS6_lllS5_T3_llli
	.p2align	8
	.type	_ZL20rocblas_hbmvn_kernelILi64ELi16EPK19rocblas_complex_numIfES3_PS1_EvbiiT1_T2_lllS6_lllS5_T3_llli,@function
_ZL20rocblas_hbmvn_kernelILi64ELi16EPK19rocblas_complex_numIfES3_PS1_EvbiiT1_T2_lllS6_lllS5_T3_llli: ; @_ZL20rocblas_hbmvn_kernelILi64ELi16EPK19rocblas_complex_numIfES3_PS1_EvbiiT1_T2_lllS6_lllS5_T3_llli
; %bb.0:
	s_load_dwordx2 s[0:1], s[4:5], 0x94
	s_waitcnt lgkmcnt(0)
	s_lshr_b32 s3, s0, 16
	s_and_b32 s2, s0, 0xffff
	s_and_b32 s1, s1, 0xffff
	s_mul_i32 s0, s3, s2
	s_mul_i32 s0, s0, s1
	s_cmpk_lg_i32 s0, 0x400
	s_cbranch_scc1 .LBB0_48
; %bb.1:
	s_load_dwordx16 s[8:23], s[4:5], 0x10
	s_load_dwordx8 s[24:31], s[4:5], 0x50
	s_waitcnt lgkmcnt(0)
	s_load_dwordx2 s[44:45], s[8:9], 0x0
	s_load_dwordx2 s[34:35], s[26:27], 0x0
	s_waitcnt lgkmcnt(0)
	v_cmp_neq_f32_e64 s[0:1], s44, 0
	v_cmp_neq_f32_e64 s[8:9], s45, 0
	s_or_b64 s[8:9], s[0:1], s[8:9]
	s_mov_b64 s[0:1], -1
	s_and_b64 vcc, exec, s[8:9]
	s_cbranch_vccnz .LBB0_3
; %bb.2:
	v_cmp_neq_f32_e64 s[0:1], s34, 1.0
	v_cmp_neq_f32_e64 s[8:9], s35, 0
	s_or_b64 s[0:1], s[0:1], s[8:9]
.LBB0_3:
	s_andn2_b64 vcc, exec, s[0:1]
	s_cbranch_vccnz .LBB0_48
; %bb.4:
	s_load_dwordx4 s[36:39], s[4:5], 0x70
	s_load_dwordx4 s[40:43], s[4:5], 0x0
	s_or_b32 s0, s44, s45
	s_bitset0_b32 s0, 31
	s_cmp_eq_u32 s0, 0
	s_cselect_b64 s[8:9], -1, 0
	v_mad_u32_u24 v12, v1, s2, v0
	s_and_b64 vcc, exec, s[8:9]
	s_cbranch_vccnz .LBB0_36
; %bb.5:
	v_lshrrev_b32_e32 v13, 6, v12
	s_waitcnt lgkmcnt(0)
	v_cmp_gt_i32_e32 vcc, s41, v13
	v_mov_b32_e32 v7, 0
	v_mov_b32_e32 v6, 0
	s_and_saveexec_b64 s[26:27], vcc
	s_cbranch_execz .LBB0_35
; %bb.6:
	s_mul_i32 s0, s17, s7
	s_mul_hi_u32 s1, s16, s7
	s_add_i32 s1, s1, s0
	s_mul_i32 s0, s16, s7
	s_lshl_b32 s33, s6, 6
	s_lshl_b64 s[4:5], s[0:1], 3
	v_and_b32_e32 v7, 63, v12
	s_add_u32 s43, s10, s4
	v_or_b32_e32 v0, s33, v7
	s_addc_u32 s50, s11, s5
	s_lshl_b64 s[12:13], s[12:13], 3
	s_add_u32 s51, s43, s12
	v_ashrrev_i32_e32 v1, 31, v0
	s_addc_u32 s52, s50, s13
	v_mul_lo_u32 v6, s14, v1
	v_mul_lo_u32 v8, s15, v0
	v_mad_u64_u32 v[2:3], s[48:49], s14, v0, 0
	v_mad_u64_u32 v[4:5], s[48:49], s22, v13, 0
	s_bitcmp1_b32 s40, 0
	s_cselect_b64 s[0:1], -1, 0
	s_and_b64 s[2:3], s[0:1], exec
	s_cselect_b32 s40, s42, 0
	s_xor_b64 s[16:17], s[0:1], -1
	v_add3_u32 v3, v3, v6, v8
	v_mad_u64_u32 v[5:6], s[48:49], s23, v13, v[5:6]
	s_cmp_eq_u32 s42, 0
	s_mul_i32 s25, s25, s7
	s_mul_hi_u32 s48, s24, s7
	s_cselect_b64 s[46:47], -1, 0
	s_add_i32 s25, s48, s25
	s_mul_i32 s24, s24, s7
	s_or_b64 s[46:47], s[16:17], s[46:47]
	v_lshlrev_b64 v[2:3], 3, v[2:3]
	s_lshl_b64 s[24:25], s[24:25], 3
	s_lshl_b64 s[20:21], s[20:21], 3
	s_add_u32 s18, s18, s20
	v_mov_b32_e32 v8, s52
	v_add_co_u32_e32 v14, vcc, s51, v2
	s_addc_u32 s19, s19, s21
	v_addc_co_u32_e32 v15, vcc, v8, v3, vcc
	v_lshlrev_b64 v[2:3], 3, v[4:5]
	s_add_u32 s18, s18, s24
	s_addc_u32 s19, s19, s25
	v_mov_b32_e32 v4, s19
	v_add_co_u32_e32 v2, vcc, s18, v2
	v_addc_co_u32_e32 v3, vcc, v4, v3, vcc
	v_mad_u64_u32 v[4:5], s[18:19], s14, v13, 0
	v_add_co_u32_e32 v2, vcc, 4, v2
	v_mad_u64_u32 v[5:6], s[18:19], s15, v13, v[5:6]
	v_addc_co_u32_e32 v3, vcc, 0, v3, vcc
	v_lshlrev_b64 v[4:5], 3, v[4:5]
	v_sub_u32_e32 v6, s40, v7
	v_subrev_u32_e32 v16, s33, v6
	v_mov_b32_e32 v6, s50
	v_add_co_u32_e32 v17, vcc, s43, v4
	s_lshl_b64 s[18:19], s[22:23], 7
	v_addc_co_u32_e32 v18, vcc, v6, v5, vcc
	s_lshl_b64 s[20:21], s[14:15], 7
	s_add_i32 s22, s42, s33
	s_lshl_b64 s[14:15], s[14:15], 3
	v_mov_b32_e32 v4, s4
	s_add_u32 s14, s14, -8
	v_mov_b32_e32 v5, s5
	v_mad_u64_u32 v[5:6], s[4:5], v13, s14, v[4:5]
	s_addc_u32 s4, s15, -1
	v_add_u32_e32 v4, s22, v7
	v_mad_u64_u32 v[6:7], s[4:5], v13, s4, v[6:7]
	v_lshlrev_b64 v[7:8], 3, v[0:1]
	s_add_u32 s33, s20, 0xffffff80
	v_add_co_u32_e32 v1, vcc, v5, v7
	v_addc_co_u32_e32 v5, vcc, v6, v8, vcc
	v_mov_b32_e32 v6, s11
	v_add_co_u32_e32 v1, vcc, s10, v1
	v_cmp_gt_i32_e64 s[2:3], s41, v0
	v_sub_u32_e32 v4, v4, v13
	v_addc_co_u32_e32 v19, vcc, v6, v5, vcc
	s_addc_u32 s40, s21, -1
	v_sub_u32_e32 v20, v0, v13
	v_mov_b32_e32 v9, 0
	s_mov_b64 s[10:11], 0
	v_mov_b32_e32 v7, 0
	v_mov_b32_e32 v6, 0
	s_branch .LBB0_10
.LBB0_7:                                ;   in Loop: Header=BB0_10 Depth=1
	s_or_b64 exec, exec, s[4:5]
.LBB0_8:                                ;   in Loop: Header=BB0_10 Depth=1
	s_or_b64 exec, exec, s[22:23]
.LBB0_9:                                ;   in Loop: Header=BB0_10 Depth=1
	s_or_b64 exec, exec, s[14:15]
	v_mov_b32_e32 v5, s19
	v_add_co_u32_e32 v2, vcc, s18, v2
	v_addc_co_u32_e32 v3, vcc, v3, v5, vcc
	v_mov_b32_e32 v5, s21
	v_add_co_u32_e32 v17, vcc, s20, v17
	v_addc_co_u32_e32 v18, vcc, v18, v5, vcc
	v_mov_b32_e32 v5, s40
	v_add_co_u32_e32 v1, vcc, s33, v1
	v_add_u32_e32 v13, 16, v13
	v_addc_co_u32_e32 v19, vcc, v19, v5, vcc
	v_cmp_le_i32_e32 vcc, s41, v13
	v_add_u32_e32 v4, -16, v4
	s_or_b64 s[10:11], vcc, s[10:11]
	v_add_u32_e32 v20, -16, v20
	s_andn2_b64 exec, exec, s[10:11]
	s_cbranch_execz .LBB0_34
.LBB0_10:                               ; =>This Inner Loop Header: Depth=1
	s_and_saveexec_b64 s[14:15], s[2:3]
	s_cbranch_execz .LBB0_9
; %bb.11:                               ;   in Loop: Header=BB0_10 Depth=1
	v_cmp_gt_i32_e32 vcc, v0, v13
	v_cndmask_b32_e64 v5, 0, 1, vcc
	v_cmp_lt_i32_e32 vcc, v0, v13
	v_cndmask_b32_e64 v8, 0, 1, vcc
	v_cndmask_b32_e64 v5, v8, v5, s[0:1]
	v_and_b32_e32 v5, 1, v5
	v_cmp_eq_u32_e32 vcc, 1, v5
	s_xor_b64 s[4:5], vcc, -1
	s_and_saveexec_b64 s[22:23], s[4:5]
	s_xor_b64 s[22:23], exec, s[22:23]
	s_cbranch_execz .LBB0_31
; %bb.12:                               ;   in Loop: Header=BB0_10 Depth=1
	v_add_u32_e32 v5, s42, v20
	v_cndmask_b32_e64 v8, v20, v5, s[0:1]
	v_cmp_le_i32_e32 vcc, s42, v8
	v_cmp_gt_i32_e64 s[4:5], 1, v8
	s_or_b64 s[4:5], vcc, s[4:5]
	s_and_saveexec_b64 s[24:25], s[4:5]
	s_xor_b64 s[4:5], exec, s[24:25]
	s_cbranch_execz .LBB0_28
; %bb.13:                               ;   in Loop: Header=BB0_10 Depth=1
	v_cmp_ne_u32_e32 vcc, 0, v8
	s_and_saveexec_b64 s[24:25], vcc
	s_xor_b64 s[24:25], exec, s[24:25]
	s_cbranch_execz .LBB0_21
; %bb.14:                               ;   in Loop: Header=BB0_10 Depth=1
	v_cmp_eq_u32_e32 vcc, s42, v8
	s_and_saveexec_b64 s[48:49], vcc
	s_cbranch_execz .LBB0_20
; %bb.15:                               ;   in Loop: Header=BB0_10 Depth=1
	s_mov_b64 s[50:51], -1
	s_and_b64 vcc, exec, s[16:17]
                                        ; implicit-def: $vgpr5
                                        ; implicit-def: $vgpr8
	s_cbranch_vccz .LBB0_17
; %bb.16:                               ;   in Loop: Header=BB0_10 Depth=1
	v_mov_b32_e32 v5, s13
	v_add_co_u32_e32 v10, vcc, s12, v1
	v_addc_co_u32_e32 v11, vcc, v19, v5, vcc
	global_load_dwordx2 v[21:22], v[2:3], off offset:-4
	s_nop 0
	global_load_dwordx2 v[10:11], v[10:11], off
	s_mov_b64 s[50:51], 0
	s_waitcnt vmcnt(0)
	v_mul_f32_e32 v5, v22, v11
	v_mul_f32_e32 v11, v21, v11
	v_fma_f32 v5, v21, v10, -v5
	v_fmac_f32_e32 v11, v22, v10
	v_add_f32_e32 v8, v6, v5
	v_add_f32_e32 v5, v7, v11
.LBB0_17:                               ;   in Loop: Header=BB0_10 Depth=1
	s_andn2_b64 vcc, exec, s[50:51]
	s_cbranch_vccnz .LBB0_19
; %bb.18:                               ;   in Loop: Header=BB0_10 Depth=1
	v_ashrrev_i32_e32 v5, 31, v4
	v_lshlrev_b64 v[10:11], 3, v[4:5]
	v_add_co_u32_e32 v5, vcc, v17, v10
	v_addc_co_u32_e32 v8, vcc, v18, v11, vcc
	v_mov_b32_e32 v11, s13
	v_add_co_u32_e32 v10, vcc, s12, v5
	v_addc_co_u32_e32 v11, vcc, v8, v11, vcc
	global_load_dwordx2 v[21:22], v[2:3], off offset:-4
	global_load_dword v5, v[10:11], off
	s_waitcnt vmcnt(0)
	v_fmac_f32_e32 v6, v5, v21
	v_fmac_f32_e32 v7, v5, v22
	v_mov_b32_e32 v5, v7
	v_mov_b32_e32 v8, v6
.LBB0_19:                               ;   in Loop: Header=BB0_10 Depth=1
	v_mov_b32_e32 v7, v5
	v_mov_b32_e32 v6, v8
.LBB0_20:                               ;   in Loop: Header=BB0_10 Depth=1
	s_or_b64 exec, exec, s[48:49]
.LBB0_21:                               ;   in Loop: Header=BB0_10 Depth=1
	s_andn2_saveexec_b64 s[24:25], s[24:25]
	s_cbranch_execz .LBB0_27
; %bb.22:                               ;   in Loop: Header=BB0_10 Depth=1
	v_mov_b32_e32 v5, s13
	v_add_co_u32_e32 v10, vcc, s12, v17
	v_addc_co_u32_e32 v11, vcc, v18, v5, vcc
	s_andn2_b64 vcc, exec, s[46:47]
	s_mov_b64 s[48:49], -1
                                        ; implicit-def: $vgpr8
                                        ; implicit-def: $vgpr5
	s_cbranch_vccnz .LBB0_24
; %bb.23:                               ;   in Loop: Header=BB0_10 Depth=1
	global_load_dword v8, v[10:11], off
	global_load_dwordx2 v[21:22], v[2:3], off offset:-4
	s_mov_b64 s[48:49], 0
	s_waitcnt vmcnt(0)
	v_fma_f32 v5, v8, v21, v6
	v_fma_f32 v8, v8, v22, v7
.LBB0_24:                               ;   in Loop: Header=BB0_10 Depth=1
	s_andn2_b64 vcc, exec, s[48:49]
	s_cbranch_vccnz .LBB0_26
; %bb.25:                               ;   in Loop: Header=BB0_10 Depth=1
	global_load_dwordx2 v[21:22], v[10:11], off
	global_load_dwordx2 v[23:24], v[2:3], off offset:-4
	s_waitcnt vmcnt(0)
	v_mul_f32_e32 v5, v24, v22
	v_mul_f32_e32 v8, v23, v22
	v_fma_f32 v5, v23, v21, -v5
	v_fmac_f32_e32 v8, v24, v21
	v_add_f32_e32 v5, v6, v5
	v_add_f32_e32 v8, v7, v8
.LBB0_26:                               ;   in Loop: Header=BB0_10 Depth=1
	v_mov_b32_e32 v7, v8
	v_mov_b32_e32 v6, v5
.LBB0_27:                               ;   in Loop: Header=BB0_10 Depth=1
	s_or_b64 exec, exec, s[24:25]
.LBB0_28:                               ;   in Loop: Header=BB0_10 Depth=1
	s_andn2_saveexec_b64 s[4:5], s[4:5]
	s_cbranch_execz .LBB0_30
; %bb.29:                               ;   in Loop: Header=BB0_10 Depth=1
	v_lshlrev_b64 v[10:11], 3, v[8:9]
	v_mov_b32_e32 v5, s13
	v_add_co_u32_e32 v8, vcc, s12, v17
	v_addc_co_u32_e32 v5, vcc, v18, v5, vcc
	v_add_co_u32_e32 v10, vcc, v8, v10
	v_addc_co_u32_e32 v11, vcc, v5, v11, vcc
	global_load_dwordx2 v[21:22], v[2:3], off offset:-4
	global_load_dwordx2 v[23:24], v[10:11], off
	s_waitcnt vmcnt(0)
	v_mul_f32_e32 v5, v22, v24
	v_mul_f32_e32 v8, v21, v24
	v_fma_f32 v5, v21, v23, -v5
	v_fmac_f32_e32 v8, v22, v23
	v_add_f32_e32 v6, v6, v5
	v_add_f32_e32 v7, v7, v8
.LBB0_30:                               ;   in Loop: Header=BB0_10 Depth=1
	s_or_b64 exec, exec, s[4:5]
.LBB0_31:                               ;   in Loop: Header=BB0_10 Depth=1
	s_andn2_saveexec_b64 s[22:23], s[22:23]
	s_cbranch_execz .LBB0_8
; %bb.32:                               ;   in Loop: Header=BB0_10 Depth=1
	v_add_u32_e32 v8, v16, v13
	v_cmp_ge_i32_e32 vcc, s42, v8
	v_cmp_lt_i32_e64 s[4:5], -1, v8
	s_and_b64 s[24:25], vcc, s[4:5]
	s_and_saveexec_b64 s[4:5], s[24:25]
	s_cbranch_execz .LBB0_7
; %bb.33:                               ;   in Loop: Header=BB0_10 Depth=1
	v_lshlrev_b64 v[10:11], 3, v[8:9]
	v_add_co_u32_e32 v10, vcc, v14, v10
	v_addc_co_u32_e32 v11, vcc, v15, v11, vcc
	global_load_dwordx2 v[21:22], v[2:3], off offset:-4
	global_load_dwordx2 v[23:24], v[10:11], off
	s_waitcnt vmcnt(0)
	v_mul_f32_e32 v5, v24, v22
	v_mul_f32_e32 v8, v24, v21
	v_fmac_f32_e32 v5, v23, v21
	v_fma_f32 v8, v23, v22, -v8
	v_add_f32_e32 v6, v6, v5
	v_add_f32_e32 v7, v7, v8
	s_branch .LBB0_7
.LBB0_34:
	s_or_b64 exec, exec, s[10:11]
.LBB0_35:
	s_or_b64 exec, exec, s[26:27]
	v_lshlrev_b32_e32 v0, 3, v12
	ds_write_b64 v0, v[6:7]
	s_waitcnt lgkmcnt(0)
	s_barrier
.LBB0_36:
	v_cmp_gt_u32_e32 vcc, 64, v12
	s_and_saveexec_b64 s[0:1], vcc
	s_cbranch_execz .LBB0_48
; %bb.37:
	s_waitcnt lgkmcnt(0)
	s_mul_i32 s0, s39, s7
	s_mul_hi_u32 s1, s38, s7
	s_add_i32 s1, s1, s0
	s_mul_i32 s0, s38, s7
	s_lshl_b64 s[0:1], s[0:1], 3
	s_add_u32 s2, s28, s0
	s_addc_u32 s3, s29, s1
	s_lshl_b64 s[0:1], s[30:31], 3
	s_add_u32 s4, s2, s0
	v_lshl_or_b32 v4, s6, 6, v12
	s_addc_u32 s5, s3, s1
	s_mov_b64 s[2:3], -1
	s_and_b64 vcc, exec, s[8:9]
	v_cmp_gt_i32_e64 s[0:1], s41, v4
	s_cbranch_vccz .LBB0_43
; %bb.38:
	s_and_saveexec_b64 s[2:3], s[0:1]
	s_cbranch_execz .LBB0_42
; %bb.39:
	v_ashrrev_i32_e32 v0, 31, v4
	v_mul_lo_u32 v5, s37, v4
	v_mul_lo_u32 v0, s36, v0
	v_mad_u64_u32 v[2:3], s[0:1], s36, v4, 0
	v_cmp_neq_f32_e64 s[0:1], s34, 0
	v_cmp_neq_f32_e64 s[6:7], s35, 0
	v_add3_u32 v3, v3, v0, v5
	s_or_b64 s[0:1], s[0:1], s[6:7]
	v_lshlrev_b64 v[2:3], 3, v[2:3]
	v_mov_b32_e32 v1, 0
	s_andn2_b64 vcc, exec, s[0:1]
	v_mov_b32_e32 v0, 0
	s_cbranch_vccnz .LBB0_41
; %bb.40:
	v_mov_b32_e32 v1, s5
	v_add_co_u32_e32 v0, vcc, s4, v2
	v_addc_co_u32_e32 v1, vcc, v1, v3, vcc
	global_load_dwordx2 v[5:6], v[0:1], off
	s_waitcnt vmcnt(0)
	v_mul_f32_e32 v0, s35, v6
	v_mul_f32_e32 v1, s34, v6
	v_fma_f32 v0, s34, v5, -v0
	v_fmac_f32_e32 v1, s35, v5
.LBB0_41:
	v_mov_b32_e32 v5, s5
	v_add_co_u32_e32 v2, vcc, s4, v2
	v_addc_co_u32_e32 v3, vcc, v5, v3, vcc
	global_store_dwordx2 v[2:3], v[0:1], off
.LBB0_42:
	s_or_b64 exec, exec, s[2:3]
	s_mov_b64 s[2:3], 0
.LBB0_43:
	s_andn2_b64 vcc, exec, s[2:3]
	s_cbranch_vccnz .LBB0_48
; %bb.44:
	v_lshlrev_b32_e32 v13, 3, v12
	ds_read2st64_b64 v[0:3], v13 offset1:1
	ds_read2st64_b64 v[5:8], v13 offset0:2 offset1:3
	ds_read2st64_b64 v[9:12], v13 offset0:4 offset1:5
	v_cmp_gt_i32_e32 vcc, s41, v4
	s_waitcnt lgkmcnt(2)
	v_add_f32_e32 v0, v0, v2
	v_add_f32_e32 v1, v1, v3
	s_waitcnt lgkmcnt(1)
	v_add_f32_e32 v0, v0, v5
	v_add_f32_e32 v1, v1, v6
	v_add_f32_e32 v5, v0, v7
	v_add_f32_e32 v6, v1, v8
	ds_read2st64_b64 v[0:3], v13 offset0:6 offset1:7
	s_waitcnt lgkmcnt(1)
	v_add_f32_e32 v5, v5, v9
	v_add_f32_e32 v6, v6, v10
	;; [unrolled: 1-line block ×4, first 2 shown]
	s_waitcnt lgkmcnt(0)
	v_add_f32_e32 v0, v5, v0
	ds_read2st64_b64 v[5:8], v13 offset0:8 offset1:9
	v_add_f32_e32 v1, v9, v1
	v_add_f32_e32 v9, v0, v2
	;; [unrolled: 1-line block ×3, first 2 shown]
	ds_read2st64_b64 v[0:3], v13 offset0:10 offset1:11
	s_waitcnt lgkmcnt(1)
	v_add_f32_e32 v5, v9, v5
	v_add_f32_e32 v6, v10, v6
	;; [unrolled: 1-line block ×4, first 2 shown]
	s_waitcnt lgkmcnt(0)
	v_add_f32_e32 v0, v5, v0
	ds_read2st64_b64 v[5:8], v13 offset0:12 offset1:13
	v_add_f32_e32 v1, v9, v1
	v_add_f32_e32 v9, v0, v2
	v_add_f32_e32 v10, v1, v3
	ds_read2st64_b64 v[0:3], v13 offset0:14 offset1:15
	s_waitcnt lgkmcnt(1)
	v_add_f32_e32 v5, v9, v5
	v_add_f32_e32 v6, v10, v6
	;; [unrolled: 1-line block ×4, first 2 shown]
	s_waitcnt lgkmcnt(0)
	v_add_f32_e32 v0, v5, v0
	v_add_f32_e32 v1, v6, v1
	;; [unrolled: 1-line block ×4, first 2 shown]
	ds_write_b64 v13, v[2:3]
	s_and_b64 exec, exec, vcc
	s_cbranch_execz .LBB0_48
; %bb.45:
	v_ashrrev_i32_e32 v0, 31, v4
	v_mul_lo_u32 v6, s37, v4
	v_mul_lo_u32 v7, s36, v0
	v_mad_u64_u32 v[4:5], s[6:7], s36, v4, 0
	v_cmp_neq_f32_e64 s[0:1], s34, 0
	v_cmp_neq_f32_e64 s[2:3], s35, 0
	v_add3_u32 v5, v5, v7, v6
	v_mul_f32_e32 v0, s45, v3
	v_mul_f32_e32 v1, s44, v3
	s_or_b64 s[0:1], s[0:1], s[2:3]
	v_lshlrev_b64 v[3:4], 3, v[4:5]
	v_fma_f32 v0, v2, s44, -v0
	s_andn2_b64 vcc, exec, s[0:1]
	v_fmac_f32_e32 v1, s45, v2
	s_cbranch_vccnz .LBB0_47
; %bb.46:
	v_mov_b32_e32 v2, s5
	v_add_co_u32_e32 v5, vcc, s4, v3
	v_addc_co_u32_e32 v6, vcc, v2, v4, vcc
	global_load_dwordx2 v[5:6], v[5:6], off
	s_waitcnt vmcnt(0)
	v_mul_f32_e32 v2, s35, v6
	v_mul_f32_e32 v6, s34, v6
	v_fma_f32 v2, s34, v5, -v2
	v_fmac_f32_e32 v6, s35, v5
	v_add_f32_e32 v0, v0, v2
	v_add_f32_e32 v1, v1, v6
.LBB0_47:
	v_mov_b32_e32 v5, s5
	v_add_co_u32_e32 v2, vcc, s4, v3
	v_addc_co_u32_e32 v3, vcc, v5, v4, vcc
	global_store_dwordx2 v[2:3], v[0:1], off
.LBB0_48:
	s_endpgm
	.section	.rodata,"a",@progbits
	.p2align	6, 0x0
	.amdhsa_kernel _ZL20rocblas_hbmvn_kernelILi64ELi16EPK19rocblas_complex_numIfES3_PS1_EvbiiT1_T2_lllS6_lllS5_T3_llli
		.amdhsa_group_segment_fixed_size 8192
		.amdhsa_private_segment_fixed_size 0
		.amdhsa_kernarg_size 392
		.amdhsa_user_sgpr_count 6
		.amdhsa_user_sgpr_private_segment_buffer 1
		.amdhsa_user_sgpr_dispatch_ptr 0
		.amdhsa_user_sgpr_queue_ptr 0
		.amdhsa_user_sgpr_kernarg_segment_ptr 1
		.amdhsa_user_sgpr_dispatch_id 0
		.amdhsa_user_sgpr_flat_scratch_init 0
		.amdhsa_user_sgpr_private_segment_size 0
		.amdhsa_uses_dynamic_stack 0
		.amdhsa_system_sgpr_private_segment_wavefront_offset 0
		.amdhsa_system_sgpr_workgroup_id_x 1
		.amdhsa_system_sgpr_workgroup_id_y 0
		.amdhsa_system_sgpr_workgroup_id_z 1
		.amdhsa_system_sgpr_workgroup_info 0
		.amdhsa_system_vgpr_workitem_id 1
		.amdhsa_next_free_vgpr 29
		.amdhsa_next_free_sgpr 61
		.amdhsa_reserve_vcc 1
		.amdhsa_reserve_flat_scratch 0
		.amdhsa_float_round_mode_32 0
		.amdhsa_float_round_mode_16_64 0
		.amdhsa_float_denorm_mode_32 3
		.amdhsa_float_denorm_mode_16_64 3
		.amdhsa_dx10_clamp 1
		.amdhsa_ieee_mode 1
		.amdhsa_fp16_overflow 0
		.amdhsa_exception_fp_ieee_invalid_op 0
		.amdhsa_exception_fp_denorm_src 0
		.amdhsa_exception_fp_ieee_div_zero 0
		.amdhsa_exception_fp_ieee_overflow 0
		.amdhsa_exception_fp_ieee_underflow 0
		.amdhsa_exception_fp_ieee_inexact 0
		.amdhsa_exception_int_div_zero 0
	.end_amdhsa_kernel
	.section	.text._ZL20rocblas_hbmvn_kernelILi64ELi16EPK19rocblas_complex_numIfES3_PS1_EvbiiT1_T2_lllS6_lllS5_T3_llli,"axG",@progbits,_ZL20rocblas_hbmvn_kernelILi64ELi16EPK19rocblas_complex_numIfES3_PS1_EvbiiT1_T2_lllS6_lllS5_T3_llli,comdat
.Lfunc_end0:
	.size	_ZL20rocblas_hbmvn_kernelILi64ELi16EPK19rocblas_complex_numIfES3_PS1_EvbiiT1_T2_lllS6_lllS5_T3_llli, .Lfunc_end0-_ZL20rocblas_hbmvn_kernelILi64ELi16EPK19rocblas_complex_numIfES3_PS1_EvbiiT1_T2_lllS6_lllS5_T3_llli
                                        ; -- End function
	.set _ZL20rocblas_hbmvn_kernelILi64ELi16EPK19rocblas_complex_numIfES3_PS1_EvbiiT1_T2_lllS6_lllS5_T3_llli.num_vgpr, 25
	.set _ZL20rocblas_hbmvn_kernelILi64ELi16EPK19rocblas_complex_numIfES3_PS1_EvbiiT1_T2_lllS6_lllS5_T3_llli.num_agpr, 0
	.set _ZL20rocblas_hbmvn_kernelILi64ELi16EPK19rocblas_complex_numIfES3_PS1_EvbiiT1_T2_lllS6_lllS5_T3_llli.numbered_sgpr, 53
	.set _ZL20rocblas_hbmvn_kernelILi64ELi16EPK19rocblas_complex_numIfES3_PS1_EvbiiT1_T2_lllS6_lllS5_T3_llli.num_named_barrier, 0
	.set _ZL20rocblas_hbmvn_kernelILi64ELi16EPK19rocblas_complex_numIfES3_PS1_EvbiiT1_T2_lllS6_lllS5_T3_llli.private_seg_size, 0
	.set _ZL20rocblas_hbmvn_kernelILi64ELi16EPK19rocblas_complex_numIfES3_PS1_EvbiiT1_T2_lllS6_lllS5_T3_llli.uses_vcc, 1
	.set _ZL20rocblas_hbmvn_kernelILi64ELi16EPK19rocblas_complex_numIfES3_PS1_EvbiiT1_T2_lllS6_lllS5_T3_llli.uses_flat_scratch, 0
	.set _ZL20rocblas_hbmvn_kernelILi64ELi16EPK19rocblas_complex_numIfES3_PS1_EvbiiT1_T2_lllS6_lllS5_T3_llli.has_dyn_sized_stack, 0
	.set _ZL20rocblas_hbmvn_kernelILi64ELi16EPK19rocblas_complex_numIfES3_PS1_EvbiiT1_T2_lllS6_lllS5_T3_llli.has_recursion, 0
	.set _ZL20rocblas_hbmvn_kernelILi64ELi16EPK19rocblas_complex_numIfES3_PS1_EvbiiT1_T2_lllS6_lllS5_T3_llli.has_indirect_call, 0
	.section	.AMDGPU.csdata,"",@progbits
; Kernel info:
; codeLenInByte = 2016
; TotalNumSgprs: 57
; NumVgprs: 25
; ScratchSize: 0
; MemoryBound: 0
; FloatMode: 240
; IeeeMode: 1
; LDSByteSize: 8192 bytes/workgroup (compile time only)
; SGPRBlocks: 8
; VGPRBlocks: 7
; NumSGPRsForWavesPerEU: 65
; NumVGPRsForWavesPerEU: 29
; Occupancy: 8
; WaveLimiterHint : 0
; COMPUTE_PGM_RSRC2:SCRATCH_EN: 0
; COMPUTE_PGM_RSRC2:USER_SGPR: 6
; COMPUTE_PGM_RSRC2:TRAP_HANDLER: 0
; COMPUTE_PGM_RSRC2:TGID_X_EN: 1
; COMPUTE_PGM_RSRC2:TGID_Y_EN: 0
; COMPUTE_PGM_RSRC2:TGID_Z_EN: 1
; COMPUTE_PGM_RSRC2:TIDIG_COMP_CNT: 1
	.section	.text._ZL20rocblas_hbmvn_kernelILi64ELi16E19rocblas_complex_numIfEPKS1_PS1_EvbiiT1_T2_lllS6_lllS5_T3_llli,"axG",@progbits,_ZL20rocblas_hbmvn_kernelILi64ELi16E19rocblas_complex_numIfEPKS1_PS1_EvbiiT1_T2_lllS6_lllS5_T3_llli,comdat
	.globl	_ZL20rocblas_hbmvn_kernelILi64ELi16E19rocblas_complex_numIfEPKS1_PS1_EvbiiT1_T2_lllS6_lllS5_T3_llli ; -- Begin function _ZL20rocblas_hbmvn_kernelILi64ELi16E19rocblas_complex_numIfEPKS1_PS1_EvbiiT1_T2_lllS6_lllS5_T3_llli
	.p2align	8
	.type	_ZL20rocblas_hbmvn_kernelILi64ELi16E19rocblas_complex_numIfEPKS1_PS1_EvbiiT1_T2_lllS6_lllS5_T3_llli,@function
_ZL20rocblas_hbmvn_kernelILi64ELi16E19rocblas_complex_numIfEPKS1_PS1_EvbiiT1_T2_lllS6_lllS5_T3_llli: ; @_ZL20rocblas_hbmvn_kernelILi64ELi16E19rocblas_complex_numIfEPKS1_PS1_EvbiiT1_T2_lllS6_lllS5_T3_llli
; %bb.0:
	s_load_dwordx2 s[0:1], s[4:5], 0x94
	s_waitcnt lgkmcnt(0)
	s_lshr_b32 s3, s0, 16
	s_and_b32 s2, s0, 0xffff
	s_and_b32 s1, s1, 0xffff
	s_mul_i32 s0, s3, s2
	s_mul_i32 s0, s0, s1
	s_cmpk_lg_i32 s0, 0x400
	s_cbranch_scc1 .LBB1_48
; %bb.1:
	s_load_dwordx4 s[24:27], s[4:5], 0x0
	s_load_dword s33, s[4:5], 0x10
	s_load_dwordx2 s[28:29], s[4:5], 0x58
	s_waitcnt lgkmcnt(0)
	v_cmp_neq_f32_e64 s[0:1], s27, 0
	v_cmp_neq_f32_e64 s[8:9], s33, 0
	s_or_b64 s[8:9], s[0:1], s[8:9]
	s_mov_b64 s[0:1], -1
	s_and_b64 vcc, exec, s[8:9]
	s_cbranch_vccnz .LBB1_3
; %bb.2:
	v_cmp_neq_f32_e64 s[0:1], s28, 1.0
	v_cmp_neq_f32_e64 s[8:9], s29, 0
	s_or_b64 s[0:1], s[0:1], s[8:9]
.LBB1_3:
	s_andn2_b64 vcc, exec, s[0:1]
	s_cbranch_vccnz .LBB1_48
; %bb.4:
	s_or_b32 s0, s27, s33
	s_bitset0_b32 s0, 31
	s_cmp_eq_u32 s0, 0
	s_cselect_b64 s[30:31], -1, 0
	v_mad_u32_u24 v12, v1, s2, v0
	s_and_b64 vcc, exec, s[30:31]
	s_cbranch_vccnz .LBB1_36
; %bb.5:
	v_lshrrev_b32_e32 v13, 6, v12
	v_cmp_gt_i32_e32 vcc, s25, v13
	v_mov_b32_e32 v7, 0
	v_mov_b32_e32 v6, 0
	s_and_saveexec_b64 s[34:35], vcc
	s_cbranch_execz .LBB1_35
; %bb.6:
	s_load_dwordx16 s[8:23], s[4:5], 0x18
	s_lshl_b32 s42, s6, 6
	v_and_b32_e32 v7, 63, v12
	v_or_b32_e32 v0, s42, v7
	v_ashrrev_i32_e32 v1, 31, v0
	s_waitcnt lgkmcnt(0)
	s_mul_i32 s0, s15, s7
	s_mul_hi_u32 s1, s14, s7
	s_add_i32 s1, s1, s0
	s_mul_i32 s0, s14, s7
	s_lshl_b64 s[38:39], s[0:1], 3
	s_add_u32 s43, s8, s38
	s_addc_u32 s44, s9, s39
	s_lshl_b64 s[10:11], s[10:11], 3
	s_add_u32 s45, s43, s10
	s_addc_u32 s46, s44, s11
	v_mul_lo_u32 v6, s12, v1
	v_mul_lo_u32 v8, s13, v0
	v_mad_u64_u32 v[2:3], s[40:41], s12, v0, 0
	v_mad_u64_u32 v[4:5], s[40:41], s20, v13, 0
	s_bitcmp1_b32 s24, 0
	s_cselect_b64 s[0:1], -1, 0
	s_and_b64 s[2:3], s[0:1], exec
	s_cselect_b32 s24, s26, 0
	s_xor_b64 s[14:15], s[0:1], -1
	v_add3_u32 v3, v3, v6, v8
	v_mad_u64_u32 v[5:6], s[40:41], s21, v13, v[5:6]
	s_cmp_eq_u32 s26, 0
	s_mul_i32 s23, s23, s7
	s_mul_hi_u32 s40, s22, s7
	s_cselect_b64 s[36:37], -1, 0
	s_add_i32 s23, s40, s23
	s_mul_i32 s22, s22, s7
	s_or_b64 s[36:37], s[14:15], s[36:37]
	v_lshlrev_b64 v[2:3], 3, v[2:3]
	s_lshl_b64 s[22:23], s[22:23], 3
	s_lshl_b64 s[18:19], s[18:19], 3
	s_add_u32 s16, s16, s18
	v_mov_b32_e32 v8, s46
	v_add_co_u32_e32 v14, vcc, s45, v2
	s_addc_u32 s17, s17, s19
	v_addc_co_u32_e32 v15, vcc, v8, v3, vcc
	v_lshlrev_b64 v[2:3], 3, v[4:5]
	s_add_u32 s16, s16, s22
	s_addc_u32 s17, s17, s23
	v_mov_b32_e32 v4, s17
	v_add_co_u32_e32 v2, vcc, s16, v2
	v_addc_co_u32_e32 v3, vcc, v4, v3, vcc
	v_mad_u64_u32 v[4:5], s[16:17], s12, v13, 0
	v_add_co_u32_e32 v2, vcc, 4, v2
	v_mad_u64_u32 v[5:6], s[16:17], s13, v13, v[5:6]
	v_addc_co_u32_e32 v3, vcc, 0, v3, vcc
	v_lshlrev_b64 v[4:5], 3, v[4:5]
	v_sub_u32_e32 v6, s24, v7
	v_subrev_u32_e32 v16, s42, v6
	v_mov_b32_e32 v6, s44
	v_add_co_u32_e32 v17, vcc, s43, v4
	s_lshl_b64 s[16:17], s[20:21], 7
	v_addc_co_u32_e32 v18, vcc, v6, v5, vcc
	s_lshl_b64 s[18:19], s[12:13], 7
	s_add_i32 s22, s26, s42
	s_lshl_b64 s[12:13], s[12:13], 3
	v_mov_b32_e32 v4, s38
	s_add_u32 s12, s12, -8
	v_mov_b32_e32 v5, s39
	v_mad_u64_u32 v[5:6], s[20:21], v13, s12, v[4:5]
	s_addc_u32 s12, s13, -1
	v_add_u32_e32 v4, s22, v7
	v_mad_u64_u32 v[6:7], s[12:13], v13, s12, v[6:7]
	v_lshlrev_b64 v[7:8], 3, v[0:1]
	s_add_u32 s24, s18, 0xffffff80
	v_add_co_u32_e32 v1, vcc, v5, v7
	v_addc_co_u32_e32 v5, vcc, v6, v8, vcc
	v_mov_b32_e32 v6, s9
	v_add_co_u32_e32 v1, vcc, s8, v1
	v_cmp_gt_i32_e64 s[2:3], s25, v0
	v_sub_u32_e32 v4, v4, v13
	v_addc_co_u32_e32 v19, vcc, v6, v5, vcc
	s_addc_u32 s44, s19, -1
	v_sub_u32_e32 v20, v0, v13
	v_mov_b32_e32 v9, 0
	s_mov_b64 s[12:13], 0
	v_mov_b32_e32 v7, 0
	v_mov_b32_e32 v6, 0
	s_branch .LBB1_10
.LBB1_7:                                ;   in Loop: Header=BB1_10 Depth=1
	s_or_b64 exec, exec, s[8:9]
.LBB1_8:                                ;   in Loop: Header=BB1_10 Depth=1
	s_or_b64 exec, exec, s[22:23]
.LBB1_9:                                ;   in Loop: Header=BB1_10 Depth=1
	s_or_b64 exec, exec, s[20:21]
	v_mov_b32_e32 v5, s17
	v_add_co_u32_e32 v2, vcc, s16, v2
	v_addc_co_u32_e32 v3, vcc, v3, v5, vcc
	v_mov_b32_e32 v5, s19
	v_add_co_u32_e32 v17, vcc, s18, v17
	v_addc_co_u32_e32 v18, vcc, v18, v5, vcc
	v_mov_b32_e32 v5, s44
	v_add_co_u32_e32 v1, vcc, s24, v1
	v_add_u32_e32 v13, 16, v13
	v_addc_co_u32_e32 v19, vcc, v19, v5, vcc
	v_cmp_le_i32_e32 vcc, s25, v13
	v_add_u32_e32 v4, -16, v4
	s_or_b64 s[12:13], vcc, s[12:13]
	v_add_u32_e32 v20, -16, v20
	s_andn2_b64 exec, exec, s[12:13]
	s_cbranch_execz .LBB1_34
.LBB1_10:                               ; =>This Inner Loop Header: Depth=1
	s_and_saveexec_b64 s[20:21], s[2:3]
	s_cbranch_execz .LBB1_9
; %bb.11:                               ;   in Loop: Header=BB1_10 Depth=1
	v_cmp_gt_i32_e32 vcc, v0, v13
	v_cndmask_b32_e64 v5, 0, 1, vcc
	v_cmp_lt_i32_e32 vcc, v0, v13
	v_cndmask_b32_e64 v8, 0, 1, vcc
	v_cndmask_b32_e64 v5, v8, v5, s[0:1]
	v_and_b32_e32 v5, 1, v5
	v_cmp_eq_u32_e32 vcc, 1, v5
	s_xor_b64 s[8:9], vcc, -1
	s_and_saveexec_b64 s[22:23], s[8:9]
	s_xor_b64 s[22:23], exec, s[22:23]
	s_cbranch_execz .LBB1_31
; %bb.12:                               ;   in Loop: Header=BB1_10 Depth=1
	v_add_u32_e32 v5, s26, v20
	v_cndmask_b32_e64 v8, v20, v5, s[0:1]
	v_cmp_le_i32_e32 vcc, s26, v8
	v_cmp_gt_i32_e64 s[8:9], 1, v8
	s_or_b64 s[8:9], vcc, s[8:9]
	s_and_saveexec_b64 s[38:39], s[8:9]
	s_xor_b64 s[8:9], exec, s[38:39]
	s_cbranch_execz .LBB1_28
; %bb.13:                               ;   in Loop: Header=BB1_10 Depth=1
	v_cmp_ne_u32_e32 vcc, 0, v8
	s_and_saveexec_b64 s[38:39], vcc
	s_xor_b64 s[38:39], exec, s[38:39]
	s_cbranch_execz .LBB1_21
; %bb.14:                               ;   in Loop: Header=BB1_10 Depth=1
	v_cmp_eq_u32_e32 vcc, s26, v8
	s_and_saveexec_b64 s[40:41], vcc
	s_cbranch_execz .LBB1_20
; %bb.15:                               ;   in Loop: Header=BB1_10 Depth=1
	s_mov_b64 s[42:43], -1
	s_and_b64 vcc, exec, s[14:15]
                                        ; implicit-def: $vgpr5
                                        ; implicit-def: $vgpr8
	s_cbranch_vccz .LBB1_17
; %bb.16:                               ;   in Loop: Header=BB1_10 Depth=1
	v_mov_b32_e32 v5, s11
	v_add_co_u32_e32 v10, vcc, s10, v1
	v_addc_co_u32_e32 v11, vcc, v19, v5, vcc
	global_load_dwordx2 v[21:22], v[2:3], off offset:-4
	global_load_dwordx2 v[23:24], v[10:11], off
	s_mov_b64 s[42:43], 0
	s_waitcnt vmcnt(0)
	v_mul_f32_e32 v5, v22, v24
	v_mul_f32_e32 v10, v21, v24
	v_fma_f32 v5, v21, v23, -v5
	v_fmac_f32_e32 v10, v22, v23
	v_add_f32_e32 v8, v6, v5
	v_add_f32_e32 v5, v7, v10
.LBB1_17:                               ;   in Loop: Header=BB1_10 Depth=1
	s_andn2_b64 vcc, exec, s[42:43]
	s_cbranch_vccnz .LBB1_19
; %bb.18:                               ;   in Loop: Header=BB1_10 Depth=1
	v_ashrrev_i32_e32 v5, 31, v4
	v_lshlrev_b64 v[10:11], 3, v[4:5]
	v_add_co_u32_e32 v5, vcc, v17, v10
	v_addc_co_u32_e32 v8, vcc, v18, v11, vcc
	v_mov_b32_e32 v11, s11
	v_add_co_u32_e32 v10, vcc, s10, v5
	v_addc_co_u32_e32 v11, vcc, v8, v11, vcc
	global_load_dwordx2 v[21:22], v[2:3], off offset:-4
	global_load_dword v5, v[10:11], off
	s_waitcnt vmcnt(0)
	v_fmac_f32_e32 v6, v5, v21
	v_fmac_f32_e32 v7, v5, v22
	v_mov_b32_e32 v5, v7
	v_mov_b32_e32 v8, v6
.LBB1_19:                               ;   in Loop: Header=BB1_10 Depth=1
	v_mov_b32_e32 v7, v5
	v_mov_b32_e32 v6, v8
.LBB1_20:                               ;   in Loop: Header=BB1_10 Depth=1
	s_or_b64 exec, exec, s[40:41]
.LBB1_21:                               ;   in Loop: Header=BB1_10 Depth=1
	s_andn2_saveexec_b64 s[38:39], s[38:39]
	s_cbranch_execz .LBB1_27
; %bb.22:                               ;   in Loop: Header=BB1_10 Depth=1
	v_mov_b32_e32 v5, s11
	v_add_co_u32_e32 v10, vcc, s10, v17
	v_addc_co_u32_e32 v11, vcc, v18, v5, vcc
	s_andn2_b64 vcc, exec, s[36:37]
	s_mov_b64 s[40:41], -1
                                        ; implicit-def: $vgpr8
                                        ; implicit-def: $vgpr5
	s_cbranch_vccnz .LBB1_24
; %bb.23:                               ;   in Loop: Header=BB1_10 Depth=1
	global_load_dword v8, v[10:11], off
	global_load_dwordx2 v[21:22], v[2:3], off offset:-4
	s_mov_b64 s[40:41], 0
	s_waitcnt vmcnt(0)
	v_fma_f32 v5, v8, v21, v6
	v_fma_f32 v8, v8, v22, v7
.LBB1_24:                               ;   in Loop: Header=BB1_10 Depth=1
	s_andn2_b64 vcc, exec, s[40:41]
	s_cbranch_vccnz .LBB1_26
; %bb.25:                               ;   in Loop: Header=BB1_10 Depth=1
	global_load_dwordx2 v[21:22], v[10:11], off
	global_load_dwordx2 v[23:24], v[2:3], off offset:-4
	s_waitcnt vmcnt(0)
	v_mul_f32_e32 v5, v24, v22
	v_mul_f32_e32 v8, v23, v22
	v_fma_f32 v5, v23, v21, -v5
	v_fmac_f32_e32 v8, v24, v21
	v_add_f32_e32 v5, v6, v5
	v_add_f32_e32 v8, v7, v8
.LBB1_26:                               ;   in Loop: Header=BB1_10 Depth=1
	v_mov_b32_e32 v7, v8
	v_mov_b32_e32 v6, v5
.LBB1_27:                               ;   in Loop: Header=BB1_10 Depth=1
	s_or_b64 exec, exec, s[38:39]
.LBB1_28:                               ;   in Loop: Header=BB1_10 Depth=1
	s_andn2_saveexec_b64 s[8:9], s[8:9]
	s_cbranch_execz .LBB1_30
; %bb.29:                               ;   in Loop: Header=BB1_10 Depth=1
	v_lshlrev_b64 v[10:11], 3, v[8:9]
	v_mov_b32_e32 v5, s11
	v_add_co_u32_e32 v8, vcc, s10, v17
	v_addc_co_u32_e32 v5, vcc, v18, v5, vcc
	v_add_co_u32_e32 v10, vcc, v8, v10
	v_addc_co_u32_e32 v11, vcc, v5, v11, vcc
	global_load_dwordx2 v[21:22], v[2:3], off offset:-4
	global_load_dwordx2 v[23:24], v[10:11], off
	s_waitcnt vmcnt(0)
	v_mul_f32_e32 v5, v22, v24
	v_mul_f32_e32 v8, v21, v24
	v_fma_f32 v5, v21, v23, -v5
	v_fmac_f32_e32 v8, v22, v23
	v_add_f32_e32 v6, v6, v5
	v_add_f32_e32 v7, v7, v8
.LBB1_30:                               ;   in Loop: Header=BB1_10 Depth=1
	s_or_b64 exec, exec, s[8:9]
.LBB1_31:                               ;   in Loop: Header=BB1_10 Depth=1
	s_andn2_saveexec_b64 s[22:23], s[22:23]
	s_cbranch_execz .LBB1_8
; %bb.32:                               ;   in Loop: Header=BB1_10 Depth=1
	v_add_u32_e32 v8, v16, v13
	v_cmp_ge_i32_e32 vcc, s26, v8
	v_cmp_lt_i32_e64 s[8:9], -1, v8
	s_and_b64 s[38:39], vcc, s[8:9]
	s_and_saveexec_b64 s[8:9], s[38:39]
	s_cbranch_execz .LBB1_7
; %bb.33:                               ;   in Loop: Header=BB1_10 Depth=1
	v_lshlrev_b64 v[10:11], 3, v[8:9]
	v_add_co_u32_e32 v10, vcc, v14, v10
	v_addc_co_u32_e32 v11, vcc, v15, v11, vcc
	global_load_dwordx2 v[21:22], v[2:3], off offset:-4
	global_load_dwordx2 v[23:24], v[10:11], off
	s_waitcnt vmcnt(0)
	v_mul_f32_e32 v5, v24, v22
	v_mul_f32_e32 v8, v24, v21
	v_fmac_f32_e32 v5, v23, v21
	v_fma_f32 v8, v23, v22, -v8
	v_add_f32_e32 v6, v6, v5
	v_add_f32_e32 v7, v7, v8
	s_branch .LBB1_7
.LBB1_34:
	s_or_b64 exec, exec, s[12:13]
.LBB1_35:
	s_or_b64 exec, exec, s[34:35]
	v_lshlrev_b32_e32 v0, 3, v12
	ds_write_b64 v0, v[6:7]
	s_waitcnt lgkmcnt(0)
	s_barrier
.LBB1_36:
	v_cmp_gt_u32_e32 vcc, 64, v12
	s_and_saveexec_b64 s[0:1], vcc
	s_cbranch_execz .LBB1_48
; %bb.37:
	s_load_dwordx8 s[8:15], s[4:5], 0x60
	v_lshl_or_b32 v4, s6, 6, v12
	s_waitcnt lgkmcnt(0)
	s_mul_i32 s1, s15, s7
	s_mul_hi_u32 s2, s14, s7
	s_mul_i32 s0, s14, s7
	s_add_i32 s1, s2, s1
	s_lshl_b64 s[0:1], s[0:1], 3
	s_add_u32 s2, s8, s0
	s_addc_u32 s3, s9, s1
	s_lshl_b64 s[0:1], s[10:11], 3
	s_add_u32 s4, s2, s0
	s_addc_u32 s5, s3, s1
	s_mov_b64 s[2:3], -1
	s_and_b64 vcc, exec, s[30:31]
	v_cmp_gt_i32_e64 s[0:1], s25, v4
	s_cbranch_vccz .LBB1_43
; %bb.38:
	s_and_saveexec_b64 s[2:3], s[0:1]
	s_cbranch_execz .LBB1_42
; %bb.39:
	v_ashrrev_i32_e32 v0, 31, v4
	v_mul_lo_u32 v5, s13, v4
	v_mul_lo_u32 v0, s12, v0
	v_mad_u64_u32 v[2:3], s[0:1], s12, v4, 0
	v_cmp_neq_f32_e64 s[0:1], s28, 0
	v_cmp_neq_f32_e64 s[6:7], s29, 0
	v_add3_u32 v3, v3, v0, v5
	s_or_b64 s[0:1], s[0:1], s[6:7]
	v_lshlrev_b64 v[2:3], 3, v[2:3]
	v_mov_b32_e32 v1, 0
	s_andn2_b64 vcc, exec, s[0:1]
	v_mov_b32_e32 v0, 0
	s_cbranch_vccnz .LBB1_41
; %bb.40:
	v_mov_b32_e32 v1, s5
	v_add_co_u32_e32 v0, vcc, s4, v2
	v_addc_co_u32_e32 v1, vcc, v1, v3, vcc
	global_load_dwordx2 v[5:6], v[0:1], off
	s_waitcnt vmcnt(0)
	v_mul_f32_e32 v0, s29, v6
	v_mul_f32_e32 v1, s28, v6
	v_fma_f32 v0, s28, v5, -v0
	v_fmac_f32_e32 v1, s29, v5
.LBB1_41:
	v_mov_b32_e32 v5, s5
	v_add_co_u32_e32 v2, vcc, s4, v2
	v_addc_co_u32_e32 v3, vcc, v5, v3, vcc
	global_store_dwordx2 v[2:3], v[0:1], off
.LBB1_42:
	s_or_b64 exec, exec, s[2:3]
	s_mov_b64 s[2:3], 0
.LBB1_43:
	s_andn2_b64 vcc, exec, s[2:3]
	s_cbranch_vccnz .LBB1_48
; %bb.44:
	v_lshlrev_b32_e32 v13, 3, v12
	ds_read2st64_b64 v[0:3], v13 offset1:1
	ds_read2st64_b64 v[5:8], v13 offset0:2 offset1:3
	ds_read2st64_b64 v[9:12], v13 offset0:4 offset1:5
	v_cmp_gt_i32_e32 vcc, s25, v4
	s_waitcnt lgkmcnt(2)
	v_add_f32_e32 v0, v0, v2
	v_add_f32_e32 v1, v1, v3
	s_waitcnt lgkmcnt(1)
	v_add_f32_e32 v0, v0, v5
	v_add_f32_e32 v1, v1, v6
	;; [unrolled: 1-line block ×4, first 2 shown]
	ds_read2st64_b64 v[0:3], v13 offset0:6 offset1:7
	s_waitcnt lgkmcnt(1)
	v_add_f32_e32 v5, v5, v9
	v_add_f32_e32 v6, v6, v10
	;; [unrolled: 1-line block ×4, first 2 shown]
	s_waitcnt lgkmcnt(0)
	v_add_f32_e32 v0, v5, v0
	ds_read2st64_b64 v[5:8], v13 offset0:8 offset1:9
	v_add_f32_e32 v1, v9, v1
	v_add_f32_e32 v9, v0, v2
	;; [unrolled: 1-line block ×3, first 2 shown]
	ds_read2st64_b64 v[0:3], v13 offset0:10 offset1:11
	s_waitcnt lgkmcnt(1)
	v_add_f32_e32 v5, v9, v5
	v_add_f32_e32 v6, v10, v6
	v_add_f32_e32 v5, v5, v7
	v_add_f32_e32 v9, v6, v8
	s_waitcnt lgkmcnt(0)
	v_add_f32_e32 v0, v5, v0
	ds_read2st64_b64 v[5:8], v13 offset0:12 offset1:13
	v_add_f32_e32 v1, v9, v1
	v_add_f32_e32 v9, v0, v2
	;; [unrolled: 1-line block ×3, first 2 shown]
	ds_read2st64_b64 v[0:3], v13 offset0:14 offset1:15
	s_waitcnt lgkmcnt(1)
	v_add_f32_e32 v5, v9, v5
	v_add_f32_e32 v6, v10, v6
	;; [unrolled: 1-line block ×4, first 2 shown]
	s_waitcnt lgkmcnt(0)
	v_add_f32_e32 v0, v5, v0
	v_add_f32_e32 v1, v6, v1
	;; [unrolled: 1-line block ×4, first 2 shown]
	ds_write_b64 v13, v[2:3]
	s_and_b64 exec, exec, vcc
	s_cbranch_execz .LBB1_48
; %bb.45:
	v_ashrrev_i32_e32 v0, 31, v4
	v_mul_lo_u32 v6, s13, v4
	v_mul_lo_u32 v7, s12, v0
	v_mad_u64_u32 v[4:5], s[6:7], s12, v4, 0
	v_cmp_neq_f32_e64 s[0:1], s28, 0
	v_cmp_neq_f32_e64 s[2:3], s29, 0
	v_add3_u32 v5, v5, v7, v6
	v_mul_f32_e32 v0, s33, v3
	v_mul_f32_e32 v1, s27, v3
	s_or_b64 s[0:1], s[0:1], s[2:3]
	v_lshlrev_b64 v[3:4], 3, v[4:5]
	v_fma_f32 v0, v2, s27, -v0
	s_andn2_b64 vcc, exec, s[0:1]
	v_fmac_f32_e32 v1, s33, v2
	s_cbranch_vccnz .LBB1_47
; %bb.46:
	v_mov_b32_e32 v2, s5
	v_add_co_u32_e32 v5, vcc, s4, v3
	v_addc_co_u32_e32 v6, vcc, v2, v4, vcc
	global_load_dwordx2 v[5:6], v[5:6], off
	s_waitcnt vmcnt(0)
	v_mul_f32_e32 v2, s29, v6
	v_mul_f32_e32 v6, s28, v6
	v_fma_f32 v2, s28, v5, -v2
	v_fmac_f32_e32 v6, s29, v5
	v_add_f32_e32 v0, v0, v2
	v_add_f32_e32 v1, v1, v6
.LBB1_47:
	v_mov_b32_e32 v5, s5
	v_add_co_u32_e32 v2, vcc, s4, v3
	v_addc_co_u32_e32 v3, vcc, v5, v4, vcc
	global_store_dwordx2 v[2:3], v[0:1], off
.LBB1_48:
	s_endpgm
	.section	.rodata,"a",@progbits
	.p2align	6, 0x0
	.amdhsa_kernel _ZL20rocblas_hbmvn_kernelILi64ELi16E19rocblas_complex_numIfEPKS1_PS1_EvbiiT1_T2_lllS6_lllS5_T3_llli
		.amdhsa_group_segment_fixed_size 8192
		.amdhsa_private_segment_fixed_size 0
		.amdhsa_kernarg_size 392
		.amdhsa_user_sgpr_count 6
		.amdhsa_user_sgpr_private_segment_buffer 1
		.amdhsa_user_sgpr_dispatch_ptr 0
		.amdhsa_user_sgpr_queue_ptr 0
		.amdhsa_user_sgpr_kernarg_segment_ptr 1
		.amdhsa_user_sgpr_dispatch_id 0
		.amdhsa_user_sgpr_flat_scratch_init 0
		.amdhsa_user_sgpr_private_segment_size 0
		.amdhsa_uses_dynamic_stack 0
		.amdhsa_system_sgpr_private_segment_wavefront_offset 0
		.amdhsa_system_sgpr_workgroup_id_x 1
		.amdhsa_system_sgpr_workgroup_id_y 0
		.amdhsa_system_sgpr_workgroup_id_z 1
		.amdhsa_system_sgpr_workgroup_info 0
		.amdhsa_system_vgpr_workitem_id 1
		.amdhsa_next_free_vgpr 29
		.amdhsa_next_free_sgpr 61
		.amdhsa_reserve_vcc 1
		.amdhsa_reserve_flat_scratch 0
		.amdhsa_float_round_mode_32 0
		.amdhsa_float_round_mode_16_64 0
		.amdhsa_float_denorm_mode_32 3
		.amdhsa_float_denorm_mode_16_64 3
		.amdhsa_dx10_clamp 1
		.amdhsa_ieee_mode 1
		.amdhsa_fp16_overflow 0
		.amdhsa_exception_fp_ieee_invalid_op 0
		.amdhsa_exception_fp_denorm_src 0
		.amdhsa_exception_fp_ieee_div_zero 0
		.amdhsa_exception_fp_ieee_overflow 0
		.amdhsa_exception_fp_ieee_underflow 0
		.amdhsa_exception_fp_ieee_inexact 0
		.amdhsa_exception_int_div_zero 0
	.end_amdhsa_kernel
	.section	.text._ZL20rocblas_hbmvn_kernelILi64ELi16E19rocblas_complex_numIfEPKS1_PS1_EvbiiT1_T2_lllS6_lllS5_T3_llli,"axG",@progbits,_ZL20rocblas_hbmvn_kernelILi64ELi16E19rocblas_complex_numIfEPKS1_PS1_EvbiiT1_T2_lllS6_lllS5_T3_llli,comdat
.Lfunc_end1:
	.size	_ZL20rocblas_hbmvn_kernelILi64ELi16E19rocblas_complex_numIfEPKS1_PS1_EvbiiT1_T2_lllS6_lllS5_T3_llli, .Lfunc_end1-_ZL20rocblas_hbmvn_kernelILi64ELi16E19rocblas_complex_numIfEPKS1_PS1_EvbiiT1_T2_lllS6_lllS5_T3_llli
                                        ; -- End function
	.set _ZL20rocblas_hbmvn_kernelILi64ELi16E19rocblas_complex_numIfEPKS1_PS1_EvbiiT1_T2_lllS6_lllS5_T3_llli.num_vgpr, 25
	.set _ZL20rocblas_hbmvn_kernelILi64ELi16E19rocblas_complex_numIfEPKS1_PS1_EvbiiT1_T2_lllS6_lllS5_T3_llli.num_agpr, 0
	.set _ZL20rocblas_hbmvn_kernelILi64ELi16E19rocblas_complex_numIfEPKS1_PS1_EvbiiT1_T2_lllS6_lllS5_T3_llli.numbered_sgpr, 47
	.set _ZL20rocblas_hbmvn_kernelILi64ELi16E19rocblas_complex_numIfEPKS1_PS1_EvbiiT1_T2_lllS6_lllS5_T3_llli.num_named_barrier, 0
	.set _ZL20rocblas_hbmvn_kernelILi64ELi16E19rocblas_complex_numIfEPKS1_PS1_EvbiiT1_T2_lllS6_lllS5_T3_llli.private_seg_size, 0
	.set _ZL20rocblas_hbmvn_kernelILi64ELi16E19rocblas_complex_numIfEPKS1_PS1_EvbiiT1_T2_lllS6_lllS5_T3_llli.uses_vcc, 1
	.set _ZL20rocblas_hbmvn_kernelILi64ELi16E19rocblas_complex_numIfEPKS1_PS1_EvbiiT1_T2_lllS6_lllS5_T3_llli.uses_flat_scratch, 0
	.set _ZL20rocblas_hbmvn_kernelILi64ELi16E19rocblas_complex_numIfEPKS1_PS1_EvbiiT1_T2_lllS6_lllS5_T3_llli.has_dyn_sized_stack, 0
	.set _ZL20rocblas_hbmvn_kernelILi64ELi16E19rocblas_complex_numIfEPKS1_PS1_EvbiiT1_T2_lllS6_lllS5_T3_llli.has_recursion, 0
	.set _ZL20rocblas_hbmvn_kernelILi64ELi16E19rocblas_complex_numIfEPKS1_PS1_EvbiiT1_T2_lllS6_lllS5_T3_llli.has_indirect_call, 0
	.section	.AMDGPU.csdata,"",@progbits
; Kernel info:
; codeLenInByte = 2000
; TotalNumSgprs: 51
; NumVgprs: 25
; ScratchSize: 0
; MemoryBound: 0
; FloatMode: 240
; IeeeMode: 1
; LDSByteSize: 8192 bytes/workgroup (compile time only)
; SGPRBlocks: 8
; VGPRBlocks: 7
; NumSGPRsForWavesPerEU: 65
; NumVGPRsForWavesPerEU: 29
; Occupancy: 8
; WaveLimiterHint : 1
; COMPUTE_PGM_RSRC2:SCRATCH_EN: 0
; COMPUTE_PGM_RSRC2:USER_SGPR: 6
; COMPUTE_PGM_RSRC2:TRAP_HANDLER: 0
; COMPUTE_PGM_RSRC2:TGID_X_EN: 1
; COMPUTE_PGM_RSRC2:TGID_Y_EN: 0
; COMPUTE_PGM_RSRC2:TGID_Z_EN: 1
; COMPUTE_PGM_RSRC2:TIDIG_COMP_CNT: 1
	.section	.text._ZL20rocblas_hbmvn_kernelILi64ELi16EPK19rocblas_complex_numIdES3_PS1_EvbiiT1_T2_lllS6_lllS5_T3_llli,"axG",@progbits,_ZL20rocblas_hbmvn_kernelILi64ELi16EPK19rocblas_complex_numIdES3_PS1_EvbiiT1_T2_lllS6_lllS5_T3_llli,comdat
	.globl	_ZL20rocblas_hbmvn_kernelILi64ELi16EPK19rocblas_complex_numIdES3_PS1_EvbiiT1_T2_lllS6_lllS5_T3_llli ; -- Begin function _ZL20rocblas_hbmvn_kernelILi64ELi16EPK19rocblas_complex_numIdES3_PS1_EvbiiT1_T2_lllS6_lllS5_T3_llli
	.p2align	8
	.type	_ZL20rocblas_hbmvn_kernelILi64ELi16EPK19rocblas_complex_numIdES3_PS1_EvbiiT1_T2_lllS6_lllS5_T3_llli,@function
_ZL20rocblas_hbmvn_kernelILi64ELi16EPK19rocblas_complex_numIdES3_PS1_EvbiiT1_T2_lllS6_lllS5_T3_llli: ; @_ZL20rocblas_hbmvn_kernelILi64ELi16EPK19rocblas_complex_numIdES3_PS1_EvbiiT1_T2_lllS6_lllS5_T3_llli
; %bb.0:
	s_load_dwordx2 s[0:1], s[4:5], 0x94
	s_waitcnt lgkmcnt(0)
	s_lshr_b32 s3, s0, 16
	s_and_b32 s2, s0, 0xffff
	s_and_b32 s1, s1, 0xffff
	s_mul_i32 s0, s3, s2
	s_mul_i32 s0, s0, s1
	s_cmpk_lg_i32 s0, 0x400
	s_cbranch_scc1 .LBB2_51
; %bb.1:
	s_load_dwordx16 s[8:23], s[4:5], 0x10
	s_load_dwordx8 s[24:31], s[4:5], 0x50
	s_waitcnt lgkmcnt(0)
	s_load_dwordx4 s[40:43], s[8:9], 0x0
	s_load_dwordx4 s[36:39], s[26:27], 0x0
	s_waitcnt lgkmcnt(0)
	v_cmp_neq_f64_e64 s[0:1], s[40:41], 0
	v_cmp_neq_f64_e64 s[8:9], s[42:43], 0
	s_or_b64 s[8:9], s[0:1], s[8:9]
	s_mov_b64 s[0:1], -1
	s_and_b64 vcc, exec, s[8:9]
	s_cbranch_vccnz .LBB2_3
; %bb.2:
	v_cmp_neq_f64_e64 s[0:1], s[36:37], 1.0
	v_cmp_neq_f64_e64 s[26:27], s[38:39], 0
	s_or_b64 s[0:1], s[0:1], s[26:27]
.LBB2_3:
	s_andn2_b64 vcc, exec, s[0:1]
	s_cbranch_vccnz .LBB2_51
; %bb.4:
	s_load_dwordx4 s[44:47], s[4:5], 0x70
	s_load_dwordx4 s[48:51], s[4:5], 0x0
	s_andn2_b64 vcc, exec, s[8:9]
	v_mad_u32_u24 v17, v1, s2, v0
	s_cbranch_vccnz .LBB2_36
; %bb.5:
	v_lshrrev_b32_e32 v18, 6, v17
	v_mov_b32_e32 v2, 0
	v_mov_b32_e32 v0, 0
	;; [unrolled: 1-line block ×4, first 2 shown]
	s_waitcnt lgkmcnt(0)
	v_cmp_gt_i32_e32 vcc, s49, v18
	s_and_saveexec_b64 s[26:27], vcc
	s_cbranch_execz .LBB2_35
; %bb.6:
	s_mul_i32 s0, s17, s7
	s_mul_hi_u32 s1, s16, s7
	s_add_i32 s1, s1, s0
	s_mul_i32 s0, s16, s7
	v_and_b32_e32 v0, 63, v17
	s_lshl_b32 s33, s6, 6
	s_lshl_b64 s[4:5], s[0:1], 4
	v_or_b32_e32 v4, s33, v0
	s_add_u32 s51, s10, s4
	s_addc_u32 s54, s11, s5
	s_lshl_b64 s[12:13], s[12:13], 4
	v_ashrrev_i32_e32 v5, 31, v4
	s_add_u32 s55, s51, s12
	v_mul_lo_u32 v3, s14, v5
	v_mul_lo_u32 v8, s15, v4
	v_mad_u64_u32 v[1:2], s[52:53], s14, v4, 0
	v_mad_u64_u32 v[6:7], s[52:53], s22, v18, 0
	s_addc_u32 s56, s54, s13
	s_bitcmp1_b32 s48, 0
	s_cselect_b64 s[0:1], -1, 0
	s_and_b64 s[2:3], s[0:1], exec
	v_add3_u32 v2, v2, v3, v8
	v_mov_b32_e32 v3, v7
	s_cselect_b32 s48, s50, 0
	s_xor_b64 s[16:17], s[0:1], -1
	v_mad_u64_u32 v[7:8], s[52:53], s23, v18, v[3:4]
	s_cmp_eq_u32 s50, 0
	s_mul_i32 s25, s25, s7
	s_mul_hi_u32 s52, s24, s7
	s_cselect_b64 s[34:35], -1, 0
	s_add_i32 s25, s52, s25
	s_mul_i32 s24, s24, s7
	s_or_b64 s[34:35], s[16:17], s[34:35]
	v_lshlrev_b64 v[1:2], 4, v[1:2]
	s_lshl_b64 s[24:25], s[24:25], 4
	s_lshl_b64 s[20:21], s[20:21], 4
	s_add_u32 s18, s18, s20
	v_mov_b32_e32 v10, s56
	v_add_co_u32_e32 v19, vcc, s55, v1
	s_addc_u32 s19, s19, s21
	v_addc_co_u32_e32 v20, vcc, v10, v2, vcc
	v_lshlrev_b64 v[1:2], 4, v[6:7]
	s_add_u32 s18, s18, s24
	s_addc_u32 s19, s19, s25
	v_mov_b32_e32 v3, s19
	v_add_co_u32_e32 v1, vcc, s18, v1
	v_addc_co_u32_e32 v2, vcc, v3, v2, vcc
	v_add_co_u32_e32 v6, vcc, 8, v1
	v_addc_co_u32_e32 v7, vcc, 0, v2, vcc
	v_mad_u64_u32 v[1:2], s[20:21], s14, v18, 0
	v_sub_u32_e32 v3, s48, v0
	v_subrev_u32_e32 v21, s33, v3
	v_mad_u64_u32 v[2:3], s[20:21], s15, v18, v[2:3]
	s_lshl_b64 s[18:19], s[22:23], 8
	s_add_i32 s22, s50, s33
	v_add_u32_e32 v0, s22, v0
	v_sub_u32_e32 v8, v0, v18
	v_lshlrev_b64 v[0:1], 4, v[1:2]
	v_mov_b32_e32 v2, s54
	v_add_co_u32_e32 v22, vcc, s51, v0
	v_addc_co_u32_e32 v23, vcc, v2, v1, vcc
	s_lshl_b64 s[20:21], s[14:15], 8
	s_lshl_b64 s[14:15], s[14:15], 4
	v_mov_b32_e32 v0, s4
	s_add_u32 s14, s14, -16
	v_mov_b32_e32 v1, s5
	v_mad_u64_u32 v[0:1], s[4:5], v18, s14, v[0:1]
	s_addc_u32 s4, s15, -1
	v_add_co_u32_e32 v24, vcc, 8, v22
	v_mad_u64_u32 v[1:2], s[4:5], v18, s4, v[1:2]
	v_lshlrev_b64 v[2:3], 4, v[4:5]
	v_addc_co_u32_e32 v25, vcc, 0, v23, vcc
	v_add_co_u32_e32 v0, vcc, v0, v2
	v_addc_co_u32_e32 v1, vcc, v1, v3, vcc
	v_mov_b32_e32 v2, s11
	v_add_co_u32_e32 v0, vcc, s10, v0
	v_addc_co_u32_e32 v1, vcc, v2, v1, vcc
	v_add_co_u32_e32 v5, vcc, 8, v0
	v_sub_u32_e32 v9, v4, v18
	v_addc_co_u32_e32 v26, vcc, 0, v1, vcc
	s_add_u32 s33, s20, 0xffffff00
	v_mov_b32_e32 v2, 0
	v_mov_b32_e32 v0, 0
	v_cmp_gt_i32_e64 s[2:3], s49, v4
	v_mov_b32_e32 v10, 0
	s_addc_u32 s48, s21, -1
	v_mov_b32_e32 v3, 0
	s_mov_b64 s[10:11], 0
	v_cndmask_b32_e64 v27, v9, v8, s[0:1]
	v_mov_b32_e32 v1, 0
	s_mov_b64 s[14:15], 0
	s_branch .LBB2_10
.LBB2_7:                                ;   in Loop: Header=BB2_10 Depth=1
	s_or_b64 exec, exec, s[4:5]
.LBB2_8:                                ;   in Loop: Header=BB2_10 Depth=1
	s_or_b64 exec, exec, s[24:25]
.LBB2_9:                                ;   in Loop: Header=BB2_10 Depth=1
	s_or_b64 exec, exec, s[22:23]
	v_mov_b32_e32 v9, s19
	v_add_co_u32_e32 v6, vcc, s18, v6
	v_addc_co_u32_e32 v7, vcc, v7, v9, vcc
	v_mov_b32_e32 v9, s21
	v_add_co_u32_e32 v24, vcc, s20, v24
	v_addc_co_u32_e32 v25, vcc, v25, v9, vcc
	v_add_co_u32_e32 v22, vcc, s20, v22
	v_add_u32_e32 v18, 16, v18
	s_add_u32 s14, s14, -16
	v_addc_co_u32_e32 v23, vcc, v23, v9, vcc
	s_addc_u32 s15, s15, -1
	v_cmp_le_i32_e32 vcc, s49, v18
	v_mov_b32_e32 v9, s48
	s_or_b64 s[10:11], vcc, s[10:11]
	v_add_co_u32_e32 v5, vcc, s33, v5
	v_add_u32_e32 v8, -16, v8
	v_addc_co_u32_e32 v26, vcc, v26, v9, vcc
	s_andn2_b64 exec, exec, s[10:11]
	s_cbranch_execz .LBB2_34
.LBB2_10:                               ; =>This Inner Loop Header: Depth=1
	s_and_saveexec_b64 s[22:23], s[2:3]
	s_cbranch_execz .LBB2_9
; %bb.11:                               ;   in Loop: Header=BB2_10 Depth=1
	v_cmp_gt_i32_e32 vcc, v4, v18
	v_cndmask_b32_e64 v9, 0, 1, vcc
	v_cmp_lt_i32_e32 vcc, v4, v18
	v_cndmask_b32_e64 v11, 0, 1, vcc
	v_cndmask_b32_e64 v9, v11, v9, s[0:1]
	v_and_b32_e32 v9, 1, v9
	v_cmp_eq_u32_e32 vcc, 1, v9
	s_xor_b64 s[4:5], vcc, -1
	s_and_saveexec_b64 s[24:25], s[4:5]
	s_xor_b64 s[24:25], exec, s[24:25]
	s_cbranch_execz .LBB2_31
; %bb.12:                               ;   in Loop: Header=BB2_10 Depth=1
	v_add_u32_e32 v9, s14, v27
	v_cmp_le_i32_e32 vcc, s50, v9
	v_cmp_gt_i32_e64 s[4:5], 1, v9
	s_or_b64 s[4:5], vcc, s[4:5]
	s_and_saveexec_b64 s[52:53], s[4:5]
	s_xor_b64 s[4:5], exec, s[52:53]
	s_cbranch_execz .LBB2_28
; %bb.13:                               ;   in Loop: Header=BB2_10 Depth=1
	v_cmp_ne_u32_e32 vcc, 0, v9
	s_and_saveexec_b64 s[52:53], vcc
	s_xor_b64 s[52:53], exec, s[52:53]
	s_cbranch_execz .LBB2_21
; %bb.14:                               ;   in Loop: Header=BB2_10 Depth=1
	v_cmp_eq_u32_e32 vcc, s50, v9
	s_and_saveexec_b64 s[54:55], vcc
	s_cbranch_execz .LBB2_20
; %bb.15:                               ;   in Loop: Header=BB2_10 Depth=1
	s_mov_b64 s[56:57], -1
	s_and_b64 vcc, exec, s[16:17]
                                        ; implicit-def: $vgpr13_vgpr14
                                        ; implicit-def: $vgpr11_vgpr12
	s_cbranch_vccz .LBB2_17
; %bb.16:                               ;   in Loop: Header=BB2_10 Depth=1
	v_mov_b32_e32 v9, s13
	v_add_co_u32_e32 v15, vcc, s12, v5
	v_addc_co_u32_e32 v16, vcc, v26, v9, vcc
	global_load_dwordx4 v[11:14], v[6:7], off offset:-8
	global_load_dwordx4 v[28:31], v[15:16], off offset:-8
	s_mov_b64 s[56:57], 0
	s_waitcnt vmcnt(0)
	v_mul_f64 v[15:16], v[13:14], v[30:31]
	v_mul_f64 v[30:31], v[11:12], v[30:31]
	v_fma_f64 v[11:12], v[11:12], v[28:29], -v[15:16]
	v_fma_f64 v[13:14], v[13:14], v[28:29], v[30:31]
	v_add_f64 v[11:12], v[0:1], v[11:12]
	v_add_f64 v[13:14], v[2:3], v[13:14]
.LBB2_17:                               ;   in Loop: Header=BB2_10 Depth=1
	s_andn2_b64 vcc, exec, s[56:57]
	s_cbranch_vccnz .LBB2_19
; %bb.18:                               ;   in Loop: Header=BB2_10 Depth=1
	v_ashrrev_i32_e32 v9, 31, v8
	v_lshlrev_b64 v[11:12], 4, v[8:9]
	v_add_co_u32_e32 v9, vcc, v22, v11
	v_addc_co_u32_e32 v11, vcc, v23, v12, vcc
	v_mov_b32_e32 v12, s13
	v_add_co_u32_e32 v15, vcc, s12, v9
	v_addc_co_u32_e32 v16, vcc, v11, v12, vcc
	global_load_dwordx4 v[11:14], v[6:7], off offset:-8
	s_nop 0
	global_load_dwordx2 v[15:16], v[15:16], off
	s_waitcnt vmcnt(0)
	v_fma_f64 v[11:12], v[15:16], v[11:12], v[0:1]
	v_fma_f64 v[13:14], v[15:16], v[13:14], v[2:3]
.LBB2_19:                               ;   in Loop: Header=BB2_10 Depth=1
	v_mov_b32_e32 v2, v13
	v_mov_b32_e32 v0, v11
	;; [unrolled: 1-line block ×4, first 2 shown]
.LBB2_20:                               ;   in Loop: Header=BB2_10 Depth=1
	s_or_b64 exec, exec, s[54:55]
.LBB2_21:                               ;   in Loop: Header=BB2_10 Depth=1
	s_andn2_saveexec_b64 s[52:53], s[52:53]
	s_cbranch_execz .LBB2_27
; %bb.22:                               ;   in Loop: Header=BB2_10 Depth=1
	v_mov_b32_e32 v9, s13
	v_add_co_u32_e32 v11, vcc, s12, v24
	v_addc_co_u32_e32 v12, vcc, v25, v9, vcc
	s_andn2_b64 vcc, exec, s[34:35]
	s_mov_b64 s[54:55], -1
                                        ; implicit-def: $vgpr15_vgpr16
                                        ; implicit-def: $vgpr13_vgpr14
	s_cbranch_vccnz .LBB2_24
; %bb.23:                               ;   in Loop: Header=BB2_10 Depth=1
	global_load_dwordx2 v[28:29], v[11:12], off offset:-8
	global_load_dwordx4 v[13:16], v[6:7], off offset:-8
	s_mov_b64 s[54:55], 0
	s_waitcnt vmcnt(0)
	v_fma_f64 v[13:14], v[28:29], v[13:14], v[0:1]
	v_fma_f64 v[15:16], v[28:29], v[15:16], v[2:3]
.LBB2_24:                               ;   in Loop: Header=BB2_10 Depth=1
	s_andn2_b64 vcc, exec, s[54:55]
	s_cbranch_vccnz .LBB2_26
; %bb.25:                               ;   in Loop: Header=BB2_10 Depth=1
	global_load_dwordx4 v[13:16], v[6:7], off offset:-8
	global_load_dwordx4 v[28:31], v[11:12], off offset:-8
	s_waitcnt vmcnt(0)
	v_mul_f64 v[11:12], v[15:16], v[30:31]
	v_mul_f64 v[30:31], v[13:14], v[30:31]
	v_fma_f64 v[11:12], v[13:14], v[28:29], -v[11:12]
	v_fma_f64 v[15:16], v[15:16], v[28:29], v[30:31]
	v_add_f64 v[13:14], v[0:1], v[11:12]
	v_add_f64 v[15:16], v[2:3], v[15:16]
.LBB2_26:                               ;   in Loop: Header=BB2_10 Depth=1
	v_mov_b32_e32 v2, v15
	v_mov_b32_e32 v0, v13
	;; [unrolled: 1-line block ×4, first 2 shown]
.LBB2_27:                               ;   in Loop: Header=BB2_10 Depth=1
	s_or_b64 exec, exec, s[52:53]
.LBB2_28:                               ;   in Loop: Header=BB2_10 Depth=1
	s_andn2_saveexec_b64 s[4:5], s[4:5]
	s_cbranch_execz .LBB2_30
; %bb.29:                               ;   in Loop: Header=BB2_10 Depth=1
	v_lshlrev_b64 v[11:12], 4, v[9:10]
	v_mov_b32_e32 v9, s13
	v_add_co_u32_e32 v13, vcc, s12, v24
	v_addc_co_u32_e32 v9, vcc, v25, v9, vcc
	v_add_co_u32_e32 v15, vcc, v13, v11
	v_addc_co_u32_e32 v16, vcc, v9, v12, vcc
	global_load_dwordx4 v[11:14], v[6:7], off offset:-8
	global_load_dwordx4 v[28:31], v[15:16], off offset:-8
	s_waitcnt vmcnt(0)
	v_mul_f64 v[15:16], v[13:14], v[30:31]
	v_mul_f64 v[30:31], v[11:12], v[30:31]
	v_fma_f64 v[11:12], v[11:12], v[28:29], -v[15:16]
	v_fma_f64 v[13:14], v[13:14], v[28:29], v[30:31]
	v_add_f64 v[0:1], v[0:1], v[11:12]
	v_add_f64 v[2:3], v[2:3], v[13:14]
.LBB2_30:                               ;   in Loop: Header=BB2_10 Depth=1
	s_or_b64 exec, exec, s[4:5]
.LBB2_31:                               ;   in Loop: Header=BB2_10 Depth=1
	s_andn2_saveexec_b64 s[24:25], s[24:25]
	s_cbranch_execz .LBB2_8
; %bb.32:                               ;   in Loop: Header=BB2_10 Depth=1
	v_add_u32_e32 v9, v21, v18
	v_cmp_ge_i32_e32 vcc, s50, v9
	v_cmp_lt_i32_e64 s[4:5], -1, v9
	s_and_b64 s[52:53], vcc, s[4:5]
	s_and_saveexec_b64 s[4:5], s[52:53]
	s_cbranch_execz .LBB2_7
; %bb.33:                               ;   in Loop: Header=BB2_10 Depth=1
	v_lshlrev_b64 v[11:12], 4, v[9:10]
	v_add_co_u32_e32 v15, vcc, v19, v11
	v_addc_co_u32_e32 v16, vcc, v20, v12, vcc
	global_load_dwordx4 v[11:14], v[6:7], off offset:-8
	global_load_dwordx4 v[28:31], v[15:16], off
	s_waitcnt vmcnt(0)
	v_mul_f64 v[15:16], v[30:31], v[13:14]
	v_mul_f64 v[30:31], v[30:31], v[11:12]
	v_fma_f64 v[11:12], v[28:29], v[11:12], v[15:16]
	v_fma_f64 v[13:14], v[28:29], v[13:14], -v[30:31]
	v_add_f64 v[0:1], v[0:1], v[11:12]
	v_add_f64 v[2:3], v[2:3], v[13:14]
	s_branch .LBB2_7
.LBB2_34:
	s_or_b64 exec, exec, s[10:11]
.LBB2_35:
	s_or_b64 exec, exec, s[26:27]
	v_lshlrev_b32_e32 v4, 4, v17
	ds_write_b128 v4, v[0:3]
	s_waitcnt lgkmcnt(0)
	s_barrier
.LBB2_36:
	v_cmp_gt_u32_e32 vcc, 64, v17
	s_and_saveexec_b64 s[0:1], vcc
	s_cbranch_execz .LBB2_51
; %bb.37:
	s_waitcnt lgkmcnt(0)
	s_mul_i32 s2, s47, s7
	s_mul_hi_u32 s3, s46, s7
	s_add_i32 s3, s3, s2
	s_mul_i32 s2, s46, s7
	s_xor_b64 s[0:1], s[8:9], -1
	s_lshl_b64 s[2:3], s[2:3], 4
	s_add_u32 s4, s28, s2
	s_addc_u32 s5, s29, s3
	s_lshl_b64 s[2:3], s[30:31], 4
	s_add_u32 s7, s4, s2
	v_lshl_or_b32 v10, s6, 6, v17
	s_addc_u32 s8, s5, s3
	s_and_b64 vcc, exec, s[0:1]
	v_cmp_gt_i32_e64 s[0:1], s49, v10
	s_cbranch_vccz .LBB2_43
; %bb.38:
	s_mov_b64 s[4:5], 0
	s_mov_b64 s[2:3], 0
                                        ; implicit-def: $vgpr2_vgpr3
                                        ; implicit-def: $vgpr8_vgpr9
	s_and_saveexec_b64 s[10:11], s[0:1]
	s_xor_b64 s[0:1], exec, s[10:11]
	s_cbranch_execz .LBB2_42
; %bb.39:
	v_cmp_neq_f64_e64 s[2:3], s[36:37], 0
	v_cmp_neq_f64_e64 s[10:11], s[38:39], 0
	v_ashrrev_i32_e32 v0, 31, v10
	v_mul_lo_u32 v4, s45, v10
	v_mad_u64_u32 v[8:9], s[12:13], s44, v10, 0
	v_mul_lo_u32 v5, s44, v0
	v_mov_b32_e32 v2, 0
	v_mov_b32_e32 v0, 0
	s_or_b64 s[2:3], s[2:3], s[10:11]
	v_mov_b32_e32 v3, 0
	s_andn2_b64 vcc, exec, s[2:3]
	v_mov_b32_e32 v1, 0
	v_add3_u32 v9, v9, v5, v4
	s_cbranch_vccnz .LBB2_41
; %bb.40:
	v_lshlrev_b64 v[0:1], 4, v[8:9]
	v_mov_b32_e32 v2, s8
	v_add_co_u32_e32 v0, vcc, s7, v0
	v_addc_co_u32_e32 v1, vcc, v2, v1, vcc
	global_load_dwordx4 v[2:5], v[0:1], off
	s_waitcnt vmcnt(0)
	v_mul_f64 v[0:1], s[38:39], v[4:5]
	v_mul_f64 v[4:5], s[36:37], v[4:5]
	v_fma_f64 v[0:1], s[36:37], v[2:3], -v[0:1]
	v_fma_f64 v[2:3], s[38:39], v[2:3], v[4:5]
.LBB2_41:
	s_mov_b64 s[2:3], exec
.LBB2_42:
	s_or_b64 exec, exec, s[0:1]
	s_and_b64 vcc, exec, s[4:5]
	s_cbranch_vccnz .LBB2_44
	s_branch .LBB2_49
.LBB2_43:
	s_mov_b64 s[2:3], 0
                                        ; implicit-def: $vgpr2_vgpr3
                                        ; implicit-def: $vgpr8_vgpr9
	s_cbranch_execz .LBB2_49
.LBB2_44:
	v_lshlrev_b32_e32 v0, 4, v17
	ds_read_b128 v[1:4], v0
	ds_read_b128 v[5:8], v0 offset:1024
	v_cmp_gt_i32_e32 vcc, s49, v10
	s_waitcnt lgkmcnt(0)
	v_add_f64 v[11:12], v[1:2], v[5:6]
	v_add_f64 v[13:14], v[3:4], v[7:8]
	ds_read_b128 v[1:4], v0 offset:2048
	ds_read_b128 v[5:8], v0 offset:3072
	s_waitcnt lgkmcnt(1)
	v_add_f64 v[1:2], v[11:12], v[1:2]
	v_add_f64 v[3:4], v[13:14], v[3:4]
	s_waitcnt lgkmcnt(0)
	v_add_f64 v[11:12], v[1:2], v[5:6]
	v_add_f64 v[13:14], v[3:4], v[7:8]
	ds_read_b128 v[1:4], v0 offset:4096
	ds_read_b128 v[5:8], v0 offset:5120
	s_waitcnt lgkmcnt(1)
	v_add_f64 v[1:2], v[11:12], v[1:2]
	v_add_f64 v[3:4], v[13:14], v[3:4]
	;; [unrolled: 8-line block ×7, first 2 shown]
	s_waitcnt lgkmcnt(0)
	v_add_f64 v[4:5], v[1:2], v[5:6]
	v_add_f64 v[6:7], v[11:12], v[7:8]
                                        ; implicit-def: $vgpr8_vgpr9
	ds_write_b128 v0, v[4:7]
                                        ; implicit-def: $vgpr2_vgpr3
	s_and_saveexec_b64 s[0:1], vcc
	s_cbranch_execz .LBB2_48
; %bb.45:
	v_mul_f64 v[0:1], s[42:43], v[6:7]
	v_mul_f64 v[2:3], s[40:41], v[6:7]
	v_cmp_neq_f64_e64 s[4:5], s[36:37], 0
	v_cmp_neq_f64_e64 s[10:11], s[38:39], 0
	v_ashrrev_i32_e32 v6, 31, v10
	v_mul_lo_u32 v7, s45, v10
	v_mad_u64_u32 v[8:9], s[12:13], s44, v10, 0
	v_fma_f64 v[0:1], s[40:41], v[4:5], -v[0:1]
	v_fma_f64 v[2:3], s[42:43], v[4:5], v[2:3]
	v_mul_lo_u32 v4, s44, v6
	s_or_b64 s[4:5], s[4:5], s[10:11]
	s_andn2_b64 vcc, exec, s[4:5]
	v_add3_u32 v9, v9, v4, v7
	s_cbranch_vccnz .LBB2_47
; %bb.46:
	v_lshlrev_b64 v[4:5], 4, v[8:9]
	v_mov_b32_e32 v6, s8
	v_add_co_u32_e32 v4, vcc, s7, v4
	v_addc_co_u32_e32 v5, vcc, v6, v5, vcc
	global_load_dwordx4 v[4:7], v[4:5], off
	s_waitcnt vmcnt(0)
	v_mul_f64 v[10:11], s[38:39], v[6:7]
	v_mul_f64 v[6:7], s[36:37], v[6:7]
	v_fma_f64 v[10:11], s[36:37], v[4:5], -v[10:11]
	v_fma_f64 v[4:5], s[38:39], v[4:5], v[6:7]
	v_add_f64 v[0:1], v[0:1], v[10:11]
	v_add_f64 v[2:3], v[2:3], v[4:5]
.LBB2_47:
	s_or_b64 s[2:3], s[2:3], exec
.LBB2_48:
	s_or_b64 exec, exec, s[0:1]
.LBB2_49:
	s_and_b64 exec, exec, s[2:3]
	s_cbranch_execz .LBB2_51
; %bb.50:
	v_lshlrev_b64 v[4:5], 4, v[8:9]
	v_mov_b32_e32 v6, s8
	v_add_co_u32_e32 v4, vcc, s7, v4
	v_addc_co_u32_e32 v5, vcc, v6, v5, vcc
	global_store_dwordx4 v[4:5], v[0:3], off
.LBB2_51:
	s_endpgm
	.section	.rodata,"a",@progbits
	.p2align	6, 0x0
	.amdhsa_kernel _ZL20rocblas_hbmvn_kernelILi64ELi16EPK19rocblas_complex_numIdES3_PS1_EvbiiT1_T2_lllS6_lllS5_T3_llli
		.amdhsa_group_segment_fixed_size 16384
		.amdhsa_private_segment_fixed_size 0
		.amdhsa_kernarg_size 392
		.amdhsa_user_sgpr_count 6
		.amdhsa_user_sgpr_private_segment_buffer 1
		.amdhsa_user_sgpr_dispatch_ptr 0
		.amdhsa_user_sgpr_queue_ptr 0
		.amdhsa_user_sgpr_kernarg_segment_ptr 1
		.amdhsa_user_sgpr_dispatch_id 0
		.amdhsa_user_sgpr_flat_scratch_init 0
		.amdhsa_user_sgpr_private_segment_size 0
		.amdhsa_uses_dynamic_stack 0
		.amdhsa_system_sgpr_private_segment_wavefront_offset 0
		.amdhsa_system_sgpr_workgroup_id_x 1
		.amdhsa_system_sgpr_workgroup_id_y 0
		.amdhsa_system_sgpr_workgroup_id_z 1
		.amdhsa_system_sgpr_workgroup_info 0
		.amdhsa_system_vgpr_workitem_id 1
		.amdhsa_next_free_vgpr 32
		.amdhsa_next_free_sgpr 61
		.amdhsa_reserve_vcc 1
		.amdhsa_reserve_flat_scratch 0
		.amdhsa_float_round_mode_32 0
		.amdhsa_float_round_mode_16_64 0
		.amdhsa_float_denorm_mode_32 3
		.amdhsa_float_denorm_mode_16_64 3
		.amdhsa_dx10_clamp 1
		.amdhsa_ieee_mode 1
		.amdhsa_fp16_overflow 0
		.amdhsa_exception_fp_ieee_invalid_op 0
		.amdhsa_exception_fp_denorm_src 0
		.amdhsa_exception_fp_ieee_div_zero 0
		.amdhsa_exception_fp_ieee_overflow 0
		.amdhsa_exception_fp_ieee_underflow 0
		.amdhsa_exception_fp_ieee_inexact 0
		.amdhsa_exception_int_div_zero 0
	.end_amdhsa_kernel
	.section	.text._ZL20rocblas_hbmvn_kernelILi64ELi16EPK19rocblas_complex_numIdES3_PS1_EvbiiT1_T2_lllS6_lllS5_T3_llli,"axG",@progbits,_ZL20rocblas_hbmvn_kernelILi64ELi16EPK19rocblas_complex_numIdES3_PS1_EvbiiT1_T2_lllS6_lllS5_T3_llli,comdat
.Lfunc_end2:
	.size	_ZL20rocblas_hbmvn_kernelILi64ELi16EPK19rocblas_complex_numIdES3_PS1_EvbiiT1_T2_lllS6_lllS5_T3_llli, .Lfunc_end2-_ZL20rocblas_hbmvn_kernelILi64ELi16EPK19rocblas_complex_numIdES3_PS1_EvbiiT1_T2_lllS6_lllS5_T3_llli
                                        ; -- End function
	.set _ZL20rocblas_hbmvn_kernelILi64ELi16EPK19rocblas_complex_numIdES3_PS1_EvbiiT1_T2_lllS6_lllS5_T3_llli.num_vgpr, 32
	.set _ZL20rocblas_hbmvn_kernelILi64ELi16EPK19rocblas_complex_numIdES3_PS1_EvbiiT1_T2_lllS6_lllS5_T3_llli.num_agpr, 0
	.set _ZL20rocblas_hbmvn_kernelILi64ELi16EPK19rocblas_complex_numIdES3_PS1_EvbiiT1_T2_lllS6_lllS5_T3_llli.numbered_sgpr, 58
	.set _ZL20rocblas_hbmvn_kernelILi64ELi16EPK19rocblas_complex_numIdES3_PS1_EvbiiT1_T2_lllS6_lllS5_T3_llli.num_named_barrier, 0
	.set _ZL20rocblas_hbmvn_kernelILi64ELi16EPK19rocblas_complex_numIdES3_PS1_EvbiiT1_T2_lllS6_lllS5_T3_llli.private_seg_size, 0
	.set _ZL20rocblas_hbmvn_kernelILi64ELi16EPK19rocblas_complex_numIdES3_PS1_EvbiiT1_T2_lllS6_lllS5_T3_llli.uses_vcc, 1
	.set _ZL20rocblas_hbmvn_kernelILi64ELi16EPK19rocblas_complex_numIdES3_PS1_EvbiiT1_T2_lllS6_lllS5_T3_llli.uses_flat_scratch, 0
	.set _ZL20rocblas_hbmvn_kernelILi64ELi16EPK19rocblas_complex_numIdES3_PS1_EvbiiT1_T2_lllS6_lllS5_T3_llli.has_dyn_sized_stack, 0
	.set _ZL20rocblas_hbmvn_kernelILi64ELi16EPK19rocblas_complex_numIdES3_PS1_EvbiiT1_T2_lllS6_lllS5_T3_llli.has_recursion, 0
	.set _ZL20rocblas_hbmvn_kernelILi64ELi16EPK19rocblas_complex_numIdES3_PS1_EvbiiT1_T2_lllS6_lllS5_T3_llli.has_indirect_call, 0
	.section	.AMDGPU.csdata,"",@progbits
; Kernel info:
; codeLenInByte = 2440
; TotalNumSgprs: 62
; NumVgprs: 32
; ScratchSize: 0
; MemoryBound: 1
; FloatMode: 240
; IeeeMode: 1
; LDSByteSize: 16384 bytes/workgroup (compile time only)
; SGPRBlocks: 8
; VGPRBlocks: 7
; NumSGPRsForWavesPerEU: 65
; NumVGPRsForWavesPerEU: 32
; Occupancy: 8
; WaveLimiterHint : 0
; COMPUTE_PGM_RSRC2:SCRATCH_EN: 0
; COMPUTE_PGM_RSRC2:USER_SGPR: 6
; COMPUTE_PGM_RSRC2:TRAP_HANDLER: 0
; COMPUTE_PGM_RSRC2:TGID_X_EN: 1
; COMPUTE_PGM_RSRC2:TGID_Y_EN: 0
; COMPUTE_PGM_RSRC2:TGID_Z_EN: 1
; COMPUTE_PGM_RSRC2:TIDIG_COMP_CNT: 1
	.section	.text._ZL20rocblas_hbmvn_kernelILi64ELi16E19rocblas_complex_numIdEPKS1_PS1_EvbiiT1_T2_lllS6_lllS5_T3_llli,"axG",@progbits,_ZL20rocblas_hbmvn_kernelILi64ELi16E19rocblas_complex_numIdEPKS1_PS1_EvbiiT1_T2_lllS6_lllS5_T3_llli,comdat
	.globl	_ZL20rocblas_hbmvn_kernelILi64ELi16E19rocblas_complex_numIdEPKS1_PS1_EvbiiT1_T2_lllS6_lllS5_T3_llli ; -- Begin function _ZL20rocblas_hbmvn_kernelILi64ELi16E19rocblas_complex_numIdEPKS1_PS1_EvbiiT1_T2_lllS6_lllS5_T3_llli
	.p2align	8
	.type	_ZL20rocblas_hbmvn_kernelILi64ELi16E19rocblas_complex_numIdEPKS1_PS1_EvbiiT1_T2_lllS6_lllS5_T3_llli,@function
_ZL20rocblas_hbmvn_kernelILi64ELi16E19rocblas_complex_numIdEPKS1_PS1_EvbiiT1_T2_lllS6_lllS5_T3_llli: ; @_ZL20rocblas_hbmvn_kernelILi64ELi16E19rocblas_complex_numIdEPKS1_PS1_EvbiiT1_T2_lllS6_lllS5_T3_llli
; %bb.0:
	s_load_dwordx2 s[0:1], s[4:5], 0xa4
	s_waitcnt lgkmcnt(0)
	s_lshr_b32 s3, s0, 16
	s_and_b32 s2, s0, 0xffff
	s_and_b32 s1, s1, 0xffff
	s_mul_i32 s0, s3, s2
	s_mul_i32 s0, s0, s1
	s_cmpk_lg_i32 s0, 0x400
	s_cbranch_scc1 .LBB3_51
; %bb.1:
	s_load_dwordx16 s[36:51], s[4:5], 0x10
	s_load_dwordx16 s[8:23], s[4:5], 0x50
	s_waitcnt lgkmcnt(0)
	v_cmp_neq_f64_e64 s[0:1], s[36:37], 0
	v_cmp_neq_f64_e64 s[24:25], s[38:39], 0
	s_or_b64 s[28:29], s[0:1], s[24:25]
	s_mov_b64 s[0:1], -1
	s_and_b64 vcc, exec, s[28:29]
	s_cbranch_vccnz .LBB3_3
; %bb.2:
	v_cmp_neq_f64_e64 s[0:1], s[12:13], 1.0
	v_cmp_neq_f64_e64 s[24:25], s[14:15], 0
	s_or_b64 s[0:1], s[0:1], s[24:25]
.LBB3_3:
	s_andn2_b64 vcc, exec, s[0:1]
	s_cbranch_vccnz .LBB3_51
; %bb.4:
	s_load_dwordx4 s[24:27], s[4:5], 0x0
	s_andn2_b64 vcc, exec, s[28:29]
	v_mad_u32_u24 v17, v1, s2, v0
	s_cbranch_vccnz .LBB3_36
; %bb.5:
	v_lshrrev_b32_e32 v18, 6, v17
	v_mov_b32_e32 v2, 0
	v_mov_b32_e32 v0, 0
	;; [unrolled: 1-line block ×4, first 2 shown]
	s_waitcnt lgkmcnt(0)
	v_cmp_gt_i32_e32 vcc, s25, v18
	s_and_saveexec_b64 s[30:31], vcc
	s_cbranch_execz .LBB3_35
; %bb.6:
	s_mul_i32 s0, s47, s7
	s_mul_hi_u32 s1, s46, s7
	s_add_i32 s1, s1, s0
	s_mul_i32 s0, s46, s7
	v_and_b32_e32 v0, 63, v17
	s_lshl_b32 s27, s6, 6
	s_lshl_b64 s[4:5], s[0:1], 4
	v_or_b32_e32 v4, s27, v0
	s_add_u32 s33, s40, s4
	s_addc_u32 s54, s41, s5
	s_lshl_b64 s[34:35], s[42:43], 4
	v_ashrrev_i32_e32 v5, 31, v4
	s_add_u32 s55, s33, s34
	v_mul_lo_u32 v3, s44, v5
	v_mul_lo_u32 v8, s45, v4
	v_mad_u64_u32 v[1:2], s[52:53], s44, v4, 0
	v_mad_u64_u32 v[6:7], s[52:53], s8, v18, 0
	s_addc_u32 s56, s54, s35
	s_bitcmp1_b32 s24, 0
	s_cselect_b64 s[0:1], -1, 0
	s_and_b64 s[2:3], s[0:1], exec
	v_add3_u32 v2, v2, v3, v8
	v_mov_b32_e32 v3, v7
	s_cselect_b32 s24, s26, 0
	s_xor_b64 s[42:43], s[0:1], -1
	v_mad_u64_u32 v[7:8], s[52:53], s9, v18, v[3:4]
	s_cmp_eq_u32 s26, 0
	s_mul_i32 s11, s11, s7
	s_mul_hi_u32 s52, s10, s7
	s_cselect_b64 s[46:47], -1, 0
	s_add_i32 s11, s52, s11
	s_mul_i32 s10, s10, s7
	s_or_b64 s[46:47], s[42:43], s[46:47]
	v_lshlrev_b64 v[1:2], 4, v[1:2]
	s_lshl_b64 s[10:11], s[10:11], 4
	s_lshl_b64 s[50:51], s[50:51], 4
	s_add_u32 s48, s48, s50
	v_mov_b32_e32 v10, s56
	v_add_co_u32_e32 v19, vcc, s55, v1
	s_addc_u32 s49, s49, s51
	v_addc_co_u32_e32 v20, vcc, v10, v2, vcc
	v_lshlrev_b64 v[1:2], 4, v[6:7]
	s_add_u32 s10, s48, s10
	s_addc_u32 s11, s49, s11
	v_mov_b32_e32 v3, s11
	v_add_co_u32_e32 v1, vcc, s10, v1
	v_addc_co_u32_e32 v2, vcc, v3, v2, vcc
	v_add_co_u32_e32 v6, vcc, 8, v1
	v_addc_co_u32_e32 v7, vcc, 0, v2, vcc
	v_mad_u64_u32 v[1:2], s[10:11], s44, v18, 0
	v_sub_u32_e32 v3, s24, v0
	v_subrev_u32_e32 v21, s27, v3
	v_mad_u64_u32 v[2:3], s[10:11], s45, v18, v[2:3]
	s_add_i32 s24, s26, s27
	v_add_u32_e32 v0, s24, v0
	v_sub_u32_e32 v8, v0, v18
	v_lshlrev_b64 v[0:1], 4, v[1:2]
	v_mov_b32_e32 v2, s54
	v_add_co_u32_e32 v22, vcc, s33, v0
	s_lshl_b64 s[8:9], s[8:9], 8
	v_addc_co_u32_e32 v23, vcc, v2, v1, vcc
	s_lshl_b64 s[10:11], s[44:45], 8
	s_lshl_b64 s[44:45], s[44:45], 4
	v_mov_b32_e32 v0, s4
	s_add_u32 s24, s44, -16
	v_mov_b32_e32 v1, s5
	v_mad_u64_u32 v[0:1], s[4:5], v18, s24, v[0:1]
	s_addc_u32 s4, s45, -1
	v_add_co_u32_e32 v24, vcc, 8, v22
	v_mad_u64_u32 v[1:2], s[4:5], v18, s4, v[1:2]
	v_lshlrev_b64 v[2:3], 4, v[4:5]
	v_addc_co_u32_e32 v25, vcc, 0, v23, vcc
	v_add_co_u32_e32 v0, vcc, v0, v2
	v_addc_co_u32_e32 v1, vcc, v1, v3, vcc
	v_mov_b32_e32 v2, s41
	v_add_co_u32_e32 v0, vcc, s40, v0
	v_addc_co_u32_e32 v1, vcc, v2, v1, vcc
	v_add_co_u32_e32 v5, vcc, 8, v0
	v_sub_u32_e32 v9, v4, v18
	v_addc_co_u32_e32 v26, vcc, 0, v1, vcc
	s_add_u32 s24, s10, 0xffffff00
	v_mov_b32_e32 v2, 0
	v_mov_b32_e32 v0, 0
	v_cmp_gt_i32_e64 s[2:3], s25, v4
	v_mov_b32_e32 v10, 0
	s_addc_u32 s27, s11, -1
	v_mov_b32_e32 v3, 0
	s_mov_b64 s[40:41], 0
	v_cndmask_b32_e64 v27, v9, v8, s[0:1]
	v_mov_b32_e32 v1, 0
	s_mov_b64 s[44:45], 0
	s_branch .LBB3_10
.LBB3_7:                                ;   in Loop: Header=BB3_10 Depth=1
	s_or_b64 exec, exec, s[4:5]
.LBB3_8:                                ;   in Loop: Header=BB3_10 Depth=1
	s_or_b64 exec, exec, s[50:51]
.LBB3_9:                                ;   in Loop: Header=BB3_10 Depth=1
	s_or_b64 exec, exec, s[48:49]
	v_mov_b32_e32 v9, s9
	v_add_co_u32_e32 v6, vcc, s8, v6
	v_addc_co_u32_e32 v7, vcc, v7, v9, vcc
	v_mov_b32_e32 v9, s11
	v_add_co_u32_e32 v24, vcc, s10, v24
	v_addc_co_u32_e32 v25, vcc, v25, v9, vcc
	v_add_co_u32_e32 v22, vcc, s10, v22
	v_add_u32_e32 v18, 16, v18
	s_add_u32 s44, s44, -16
	v_addc_co_u32_e32 v23, vcc, v23, v9, vcc
	s_addc_u32 s45, s45, -1
	v_cmp_le_i32_e32 vcc, s25, v18
	v_mov_b32_e32 v9, s27
	s_or_b64 s[40:41], vcc, s[40:41]
	v_add_co_u32_e32 v5, vcc, s24, v5
	v_add_u32_e32 v8, -16, v8
	v_addc_co_u32_e32 v26, vcc, v26, v9, vcc
	s_andn2_b64 exec, exec, s[40:41]
	s_cbranch_execz .LBB3_34
.LBB3_10:                               ; =>This Inner Loop Header: Depth=1
	s_and_saveexec_b64 s[48:49], s[2:3]
	s_cbranch_execz .LBB3_9
; %bb.11:                               ;   in Loop: Header=BB3_10 Depth=1
	v_cmp_gt_i32_e32 vcc, v4, v18
	v_cndmask_b32_e64 v9, 0, 1, vcc
	v_cmp_lt_i32_e32 vcc, v4, v18
	v_cndmask_b32_e64 v11, 0, 1, vcc
	v_cndmask_b32_e64 v9, v11, v9, s[0:1]
	v_and_b32_e32 v9, 1, v9
	v_cmp_eq_u32_e32 vcc, 1, v9
	s_xor_b64 s[4:5], vcc, -1
	s_and_saveexec_b64 s[50:51], s[4:5]
	s_xor_b64 s[50:51], exec, s[50:51]
	s_cbranch_execz .LBB3_31
; %bb.12:                               ;   in Loop: Header=BB3_10 Depth=1
	v_add_u32_e32 v9, s44, v27
	v_cmp_le_i32_e32 vcc, s26, v9
	v_cmp_gt_i32_e64 s[4:5], 1, v9
	s_or_b64 s[4:5], vcc, s[4:5]
	s_and_saveexec_b64 s[52:53], s[4:5]
	s_xor_b64 s[4:5], exec, s[52:53]
	s_cbranch_execz .LBB3_28
; %bb.13:                               ;   in Loop: Header=BB3_10 Depth=1
	v_cmp_ne_u32_e32 vcc, 0, v9
	s_and_saveexec_b64 s[52:53], vcc
	s_xor_b64 s[52:53], exec, s[52:53]
	s_cbranch_execz .LBB3_21
; %bb.14:                               ;   in Loop: Header=BB3_10 Depth=1
	v_cmp_eq_u32_e32 vcc, s26, v9
	s_and_saveexec_b64 s[54:55], vcc
	s_cbranch_execz .LBB3_20
; %bb.15:                               ;   in Loop: Header=BB3_10 Depth=1
	s_mov_b64 s[56:57], -1
	s_and_b64 vcc, exec, s[42:43]
                                        ; implicit-def: $vgpr13_vgpr14
                                        ; implicit-def: $vgpr11_vgpr12
	s_cbranch_vccz .LBB3_17
; %bb.16:                               ;   in Loop: Header=BB3_10 Depth=1
	v_mov_b32_e32 v9, s35
	v_add_co_u32_e32 v15, vcc, s34, v5
	v_addc_co_u32_e32 v16, vcc, v26, v9, vcc
	global_load_dwordx4 v[11:14], v[6:7], off offset:-8
	global_load_dwordx4 v[28:31], v[15:16], off offset:-8
	s_mov_b64 s[56:57], 0
	s_waitcnt vmcnt(0)
	v_mul_f64 v[15:16], v[13:14], v[30:31]
	v_mul_f64 v[30:31], v[11:12], v[30:31]
	v_fma_f64 v[11:12], v[11:12], v[28:29], -v[15:16]
	v_fma_f64 v[13:14], v[13:14], v[28:29], v[30:31]
	v_add_f64 v[11:12], v[0:1], v[11:12]
	v_add_f64 v[13:14], v[2:3], v[13:14]
.LBB3_17:                               ;   in Loop: Header=BB3_10 Depth=1
	s_andn2_b64 vcc, exec, s[56:57]
	s_cbranch_vccnz .LBB3_19
; %bb.18:                               ;   in Loop: Header=BB3_10 Depth=1
	v_ashrrev_i32_e32 v9, 31, v8
	v_lshlrev_b64 v[11:12], 4, v[8:9]
	v_add_co_u32_e32 v9, vcc, v22, v11
	v_addc_co_u32_e32 v11, vcc, v23, v12, vcc
	v_mov_b32_e32 v12, s35
	v_add_co_u32_e32 v15, vcc, s34, v9
	v_addc_co_u32_e32 v16, vcc, v11, v12, vcc
	global_load_dwordx4 v[11:14], v[6:7], off offset:-8
	s_nop 0
	global_load_dwordx2 v[15:16], v[15:16], off
	s_waitcnt vmcnt(0)
	v_fma_f64 v[11:12], v[15:16], v[11:12], v[0:1]
	v_fma_f64 v[13:14], v[15:16], v[13:14], v[2:3]
.LBB3_19:                               ;   in Loop: Header=BB3_10 Depth=1
	v_mov_b32_e32 v2, v13
	v_mov_b32_e32 v0, v11
	v_mov_b32_e32 v3, v14
	v_mov_b32_e32 v1, v12
.LBB3_20:                               ;   in Loop: Header=BB3_10 Depth=1
	s_or_b64 exec, exec, s[54:55]
.LBB3_21:                               ;   in Loop: Header=BB3_10 Depth=1
	s_andn2_saveexec_b64 s[52:53], s[52:53]
	s_cbranch_execz .LBB3_27
; %bb.22:                               ;   in Loop: Header=BB3_10 Depth=1
	v_mov_b32_e32 v9, s35
	v_add_co_u32_e32 v11, vcc, s34, v24
	v_addc_co_u32_e32 v12, vcc, v25, v9, vcc
	s_andn2_b64 vcc, exec, s[46:47]
	s_mov_b64 s[54:55], -1
                                        ; implicit-def: $vgpr15_vgpr16
                                        ; implicit-def: $vgpr13_vgpr14
	s_cbranch_vccnz .LBB3_24
; %bb.23:                               ;   in Loop: Header=BB3_10 Depth=1
	global_load_dwordx2 v[28:29], v[11:12], off offset:-8
	global_load_dwordx4 v[13:16], v[6:7], off offset:-8
	s_mov_b64 s[54:55], 0
	s_waitcnt vmcnt(0)
	v_fma_f64 v[13:14], v[28:29], v[13:14], v[0:1]
	v_fma_f64 v[15:16], v[28:29], v[15:16], v[2:3]
.LBB3_24:                               ;   in Loop: Header=BB3_10 Depth=1
	s_andn2_b64 vcc, exec, s[54:55]
	s_cbranch_vccnz .LBB3_26
; %bb.25:                               ;   in Loop: Header=BB3_10 Depth=1
	global_load_dwordx4 v[13:16], v[6:7], off offset:-8
	global_load_dwordx4 v[28:31], v[11:12], off offset:-8
	s_waitcnt vmcnt(0)
	v_mul_f64 v[11:12], v[15:16], v[30:31]
	v_mul_f64 v[30:31], v[13:14], v[30:31]
	v_fma_f64 v[11:12], v[13:14], v[28:29], -v[11:12]
	v_fma_f64 v[15:16], v[15:16], v[28:29], v[30:31]
	v_add_f64 v[13:14], v[0:1], v[11:12]
	v_add_f64 v[15:16], v[2:3], v[15:16]
.LBB3_26:                               ;   in Loop: Header=BB3_10 Depth=1
	v_mov_b32_e32 v2, v15
	v_mov_b32_e32 v0, v13
	;; [unrolled: 1-line block ×4, first 2 shown]
.LBB3_27:                               ;   in Loop: Header=BB3_10 Depth=1
	s_or_b64 exec, exec, s[52:53]
.LBB3_28:                               ;   in Loop: Header=BB3_10 Depth=1
	s_andn2_saveexec_b64 s[4:5], s[4:5]
	s_cbranch_execz .LBB3_30
; %bb.29:                               ;   in Loop: Header=BB3_10 Depth=1
	v_lshlrev_b64 v[11:12], 4, v[9:10]
	v_mov_b32_e32 v9, s35
	v_add_co_u32_e32 v13, vcc, s34, v24
	v_addc_co_u32_e32 v9, vcc, v25, v9, vcc
	v_add_co_u32_e32 v15, vcc, v13, v11
	v_addc_co_u32_e32 v16, vcc, v9, v12, vcc
	global_load_dwordx4 v[11:14], v[6:7], off offset:-8
	global_load_dwordx4 v[28:31], v[15:16], off offset:-8
	s_waitcnt vmcnt(0)
	v_mul_f64 v[15:16], v[13:14], v[30:31]
	v_mul_f64 v[30:31], v[11:12], v[30:31]
	v_fma_f64 v[11:12], v[11:12], v[28:29], -v[15:16]
	v_fma_f64 v[13:14], v[13:14], v[28:29], v[30:31]
	v_add_f64 v[0:1], v[0:1], v[11:12]
	v_add_f64 v[2:3], v[2:3], v[13:14]
.LBB3_30:                               ;   in Loop: Header=BB3_10 Depth=1
	s_or_b64 exec, exec, s[4:5]
.LBB3_31:                               ;   in Loop: Header=BB3_10 Depth=1
	s_andn2_saveexec_b64 s[50:51], s[50:51]
	s_cbranch_execz .LBB3_8
; %bb.32:                               ;   in Loop: Header=BB3_10 Depth=1
	v_add_u32_e32 v9, v21, v18
	v_cmp_ge_i32_e32 vcc, s26, v9
	v_cmp_lt_i32_e64 s[4:5], -1, v9
	s_and_b64 s[52:53], vcc, s[4:5]
	s_and_saveexec_b64 s[4:5], s[52:53]
	s_cbranch_execz .LBB3_7
; %bb.33:                               ;   in Loop: Header=BB3_10 Depth=1
	v_lshlrev_b64 v[11:12], 4, v[9:10]
	v_add_co_u32_e32 v15, vcc, v19, v11
	v_addc_co_u32_e32 v16, vcc, v20, v12, vcc
	global_load_dwordx4 v[11:14], v[6:7], off offset:-8
	global_load_dwordx4 v[28:31], v[15:16], off
	s_waitcnt vmcnt(0)
	v_mul_f64 v[15:16], v[30:31], v[13:14]
	v_mul_f64 v[30:31], v[30:31], v[11:12]
	v_fma_f64 v[11:12], v[28:29], v[11:12], v[15:16]
	v_fma_f64 v[13:14], v[28:29], v[13:14], -v[30:31]
	v_add_f64 v[0:1], v[0:1], v[11:12]
	v_add_f64 v[2:3], v[2:3], v[13:14]
	s_branch .LBB3_7
.LBB3_34:
	s_or_b64 exec, exec, s[40:41]
.LBB3_35:
	s_or_b64 exec, exec, s[30:31]
	v_lshlrev_b32_e32 v4, 4, v17
	ds_write_b128 v4, v[0:3]
	s_waitcnt lgkmcnt(0)
	s_barrier
.LBB3_36:
	v_cmp_gt_u32_e32 vcc, 64, v17
	s_and_saveexec_b64 s[0:1], vcc
	s_cbranch_execz .LBB3_51
; %bb.37:
	s_mul_i32 s2, s23, s7
	s_mul_hi_u32 s3, s22, s7
	s_add_i32 s3, s3, s2
	s_mul_i32 s2, s22, s7
	s_xor_b64 s[0:1], s[28:29], -1
	s_lshl_b64 s[2:3], s[2:3], 4
	s_add_u32 s4, s16, s2
	s_addc_u32 s5, s17, s3
	s_lshl_b64 s[2:3], s[18:19], 4
	s_add_u32 s7, s4, s2
	v_lshl_or_b32 v10, s6, 6, v17
	s_addc_u32 s8, s5, s3
	s_and_b64 vcc, exec, s[0:1]
	s_waitcnt lgkmcnt(0)
	v_cmp_gt_i32_e64 s[0:1], s25, v10
	s_cbranch_vccz .LBB3_43
; %bb.38:
	s_mov_b64 s[4:5], 0
	s_mov_b64 s[2:3], 0
                                        ; implicit-def: $vgpr2_vgpr3
                                        ; implicit-def: $vgpr8_vgpr9
	s_and_saveexec_b64 s[10:11], s[0:1]
	s_xor_b64 s[0:1], exec, s[10:11]
	s_cbranch_execz .LBB3_42
; %bb.39:
	v_cmp_neq_f64_e64 s[2:3], s[12:13], 0
	v_cmp_neq_f64_e64 s[10:11], s[14:15], 0
	v_ashrrev_i32_e32 v0, 31, v10
	v_mul_lo_u32 v4, s21, v10
	v_mad_u64_u32 v[8:9], s[16:17], s20, v10, 0
	v_mul_lo_u32 v5, s20, v0
	v_mov_b32_e32 v2, 0
	v_mov_b32_e32 v0, 0
	s_or_b64 s[2:3], s[2:3], s[10:11]
	v_mov_b32_e32 v3, 0
	s_andn2_b64 vcc, exec, s[2:3]
	v_mov_b32_e32 v1, 0
	v_add3_u32 v9, v9, v5, v4
	s_cbranch_vccnz .LBB3_41
; %bb.40:
	v_lshlrev_b64 v[0:1], 4, v[8:9]
	v_mov_b32_e32 v2, s8
	v_add_co_u32_e32 v0, vcc, s7, v0
	v_addc_co_u32_e32 v1, vcc, v2, v1, vcc
	global_load_dwordx4 v[2:5], v[0:1], off
	s_waitcnt vmcnt(0)
	v_mul_f64 v[0:1], s[14:15], v[4:5]
	v_mul_f64 v[4:5], s[12:13], v[4:5]
	v_fma_f64 v[0:1], s[12:13], v[2:3], -v[0:1]
	v_fma_f64 v[2:3], s[14:15], v[2:3], v[4:5]
.LBB3_41:
	s_mov_b64 s[2:3], exec
.LBB3_42:
	s_or_b64 exec, exec, s[0:1]
	s_and_b64 vcc, exec, s[4:5]
	s_cbranch_vccnz .LBB3_44
	s_branch .LBB3_49
.LBB3_43:
	s_mov_b64 s[2:3], 0
                                        ; implicit-def: $vgpr2_vgpr3
                                        ; implicit-def: $vgpr8_vgpr9
	s_cbranch_execz .LBB3_49
.LBB3_44:
	v_lshlrev_b32_e32 v0, 4, v17
	ds_read_b128 v[1:4], v0
	ds_read_b128 v[5:8], v0 offset:1024
	v_cmp_gt_i32_e32 vcc, s25, v10
	s_waitcnt lgkmcnt(0)
	v_add_f64 v[11:12], v[1:2], v[5:6]
	v_add_f64 v[13:14], v[3:4], v[7:8]
	ds_read_b128 v[1:4], v0 offset:2048
	ds_read_b128 v[5:8], v0 offset:3072
	s_waitcnt lgkmcnt(1)
	v_add_f64 v[1:2], v[11:12], v[1:2]
	v_add_f64 v[3:4], v[13:14], v[3:4]
	s_waitcnt lgkmcnt(0)
	v_add_f64 v[11:12], v[1:2], v[5:6]
	v_add_f64 v[13:14], v[3:4], v[7:8]
	ds_read_b128 v[1:4], v0 offset:4096
	ds_read_b128 v[5:8], v0 offset:5120
	s_waitcnt lgkmcnt(1)
	v_add_f64 v[1:2], v[11:12], v[1:2]
	v_add_f64 v[3:4], v[13:14], v[3:4]
	;; [unrolled: 8-line block ×7, first 2 shown]
	s_waitcnt lgkmcnt(0)
	v_add_f64 v[4:5], v[1:2], v[5:6]
	v_add_f64 v[6:7], v[11:12], v[7:8]
                                        ; implicit-def: $vgpr8_vgpr9
	ds_write_b128 v0, v[4:7]
                                        ; implicit-def: $vgpr2_vgpr3
	s_and_saveexec_b64 s[0:1], vcc
	s_cbranch_execz .LBB3_48
; %bb.45:
	v_mul_f64 v[0:1], s[38:39], v[6:7]
	v_mul_f64 v[2:3], s[36:37], v[6:7]
	v_cmp_neq_f64_e64 s[4:5], s[12:13], 0
	v_cmp_neq_f64_e64 s[10:11], s[14:15], 0
	v_ashrrev_i32_e32 v6, 31, v10
	v_mul_lo_u32 v7, s21, v10
	v_mad_u64_u32 v[8:9], s[16:17], s20, v10, 0
	v_fma_f64 v[0:1], s[36:37], v[4:5], -v[0:1]
	v_fma_f64 v[2:3], s[38:39], v[4:5], v[2:3]
	v_mul_lo_u32 v4, s20, v6
	s_or_b64 s[4:5], s[4:5], s[10:11]
	s_andn2_b64 vcc, exec, s[4:5]
	v_add3_u32 v9, v9, v4, v7
	s_cbranch_vccnz .LBB3_47
; %bb.46:
	v_lshlrev_b64 v[4:5], 4, v[8:9]
	v_mov_b32_e32 v6, s8
	v_add_co_u32_e32 v4, vcc, s7, v4
	v_addc_co_u32_e32 v5, vcc, v6, v5, vcc
	global_load_dwordx4 v[4:7], v[4:5], off
	s_waitcnt vmcnt(0)
	v_mul_f64 v[10:11], s[14:15], v[6:7]
	v_mul_f64 v[6:7], s[12:13], v[6:7]
	v_fma_f64 v[10:11], s[12:13], v[4:5], -v[10:11]
	v_fma_f64 v[4:5], s[14:15], v[4:5], v[6:7]
	v_add_f64 v[0:1], v[0:1], v[10:11]
	v_add_f64 v[2:3], v[2:3], v[4:5]
.LBB3_47:
	s_or_b64 s[2:3], s[2:3], exec
.LBB3_48:
	s_or_b64 exec, exec, s[0:1]
.LBB3_49:
	s_and_b64 exec, exec, s[2:3]
	s_cbranch_execz .LBB3_51
; %bb.50:
	v_lshlrev_b64 v[4:5], 4, v[8:9]
	v_mov_b32_e32 v6, s8
	v_add_co_u32_e32 v4, vcc, s7, v4
	v_addc_co_u32_e32 v5, vcc, v6, v5, vcc
	global_store_dwordx4 v[4:5], v[0:3], off
.LBB3_51:
	s_endpgm
	.section	.rodata,"a",@progbits
	.p2align	6, 0x0
	.amdhsa_kernel _ZL20rocblas_hbmvn_kernelILi64ELi16E19rocblas_complex_numIdEPKS1_PS1_EvbiiT1_T2_lllS6_lllS5_T3_llli
		.amdhsa_group_segment_fixed_size 16384
		.amdhsa_private_segment_fixed_size 0
		.amdhsa_kernarg_size 408
		.amdhsa_user_sgpr_count 6
		.amdhsa_user_sgpr_private_segment_buffer 1
		.amdhsa_user_sgpr_dispatch_ptr 0
		.amdhsa_user_sgpr_queue_ptr 0
		.amdhsa_user_sgpr_kernarg_segment_ptr 1
		.amdhsa_user_sgpr_dispatch_id 0
		.amdhsa_user_sgpr_flat_scratch_init 0
		.amdhsa_user_sgpr_private_segment_size 0
		.amdhsa_uses_dynamic_stack 0
		.amdhsa_system_sgpr_private_segment_wavefront_offset 0
		.amdhsa_system_sgpr_workgroup_id_x 1
		.amdhsa_system_sgpr_workgroup_id_y 0
		.amdhsa_system_sgpr_workgroup_id_z 1
		.amdhsa_system_sgpr_workgroup_info 0
		.amdhsa_system_vgpr_workitem_id 1
		.amdhsa_next_free_vgpr 32
		.amdhsa_next_free_sgpr 61
		.amdhsa_reserve_vcc 1
		.amdhsa_reserve_flat_scratch 0
		.amdhsa_float_round_mode_32 0
		.amdhsa_float_round_mode_16_64 0
		.amdhsa_float_denorm_mode_32 3
		.amdhsa_float_denorm_mode_16_64 3
		.amdhsa_dx10_clamp 1
		.amdhsa_ieee_mode 1
		.amdhsa_fp16_overflow 0
		.amdhsa_exception_fp_ieee_invalid_op 0
		.amdhsa_exception_fp_denorm_src 0
		.amdhsa_exception_fp_ieee_div_zero 0
		.amdhsa_exception_fp_ieee_overflow 0
		.amdhsa_exception_fp_ieee_underflow 0
		.amdhsa_exception_fp_ieee_inexact 0
		.amdhsa_exception_int_div_zero 0
	.end_amdhsa_kernel
	.section	.text._ZL20rocblas_hbmvn_kernelILi64ELi16E19rocblas_complex_numIdEPKS1_PS1_EvbiiT1_T2_lllS6_lllS5_T3_llli,"axG",@progbits,_ZL20rocblas_hbmvn_kernelILi64ELi16E19rocblas_complex_numIdEPKS1_PS1_EvbiiT1_T2_lllS6_lllS5_T3_llli,comdat
.Lfunc_end3:
	.size	_ZL20rocblas_hbmvn_kernelILi64ELi16E19rocblas_complex_numIdEPKS1_PS1_EvbiiT1_T2_lllS6_lllS5_T3_llli, .Lfunc_end3-_ZL20rocblas_hbmvn_kernelILi64ELi16E19rocblas_complex_numIdEPKS1_PS1_EvbiiT1_T2_lllS6_lllS5_T3_llli
                                        ; -- End function
	.set _ZL20rocblas_hbmvn_kernelILi64ELi16E19rocblas_complex_numIdEPKS1_PS1_EvbiiT1_T2_lllS6_lllS5_T3_llli.num_vgpr, 32
	.set _ZL20rocblas_hbmvn_kernelILi64ELi16E19rocblas_complex_numIdEPKS1_PS1_EvbiiT1_T2_lllS6_lllS5_T3_llli.num_agpr, 0
	.set _ZL20rocblas_hbmvn_kernelILi64ELi16E19rocblas_complex_numIdEPKS1_PS1_EvbiiT1_T2_lllS6_lllS5_T3_llli.numbered_sgpr, 58
	.set _ZL20rocblas_hbmvn_kernelILi64ELi16E19rocblas_complex_numIdEPKS1_PS1_EvbiiT1_T2_lllS6_lllS5_T3_llli.num_named_barrier, 0
	.set _ZL20rocblas_hbmvn_kernelILi64ELi16E19rocblas_complex_numIdEPKS1_PS1_EvbiiT1_T2_lllS6_lllS5_T3_llli.private_seg_size, 0
	.set _ZL20rocblas_hbmvn_kernelILi64ELi16E19rocblas_complex_numIdEPKS1_PS1_EvbiiT1_T2_lllS6_lllS5_T3_llli.uses_vcc, 1
	.set _ZL20rocblas_hbmvn_kernelILi64ELi16E19rocblas_complex_numIdEPKS1_PS1_EvbiiT1_T2_lllS6_lllS5_T3_llli.uses_flat_scratch, 0
	.set _ZL20rocblas_hbmvn_kernelILi64ELi16E19rocblas_complex_numIdEPKS1_PS1_EvbiiT1_T2_lllS6_lllS5_T3_llli.has_dyn_sized_stack, 0
	.set _ZL20rocblas_hbmvn_kernelILi64ELi16E19rocblas_complex_numIdEPKS1_PS1_EvbiiT1_T2_lllS6_lllS5_T3_llli.has_recursion, 0
	.set _ZL20rocblas_hbmvn_kernelILi64ELi16E19rocblas_complex_numIdEPKS1_PS1_EvbiiT1_T2_lllS6_lllS5_T3_llli.has_indirect_call, 0
	.section	.AMDGPU.csdata,"",@progbits
; Kernel info:
; codeLenInByte = 2412
; TotalNumSgprs: 62
; NumVgprs: 32
; ScratchSize: 0
; MemoryBound: 1
; FloatMode: 240
; IeeeMode: 1
; LDSByteSize: 16384 bytes/workgroup (compile time only)
; SGPRBlocks: 8
; VGPRBlocks: 7
; NumSGPRsForWavesPerEU: 65
; NumVGPRsForWavesPerEU: 32
; Occupancy: 8
; WaveLimiterHint : 0
; COMPUTE_PGM_RSRC2:SCRATCH_EN: 0
; COMPUTE_PGM_RSRC2:USER_SGPR: 6
; COMPUTE_PGM_RSRC2:TRAP_HANDLER: 0
; COMPUTE_PGM_RSRC2:TGID_X_EN: 1
; COMPUTE_PGM_RSRC2:TGID_Y_EN: 0
; COMPUTE_PGM_RSRC2:TGID_Z_EN: 1
; COMPUTE_PGM_RSRC2:TIDIG_COMP_CNT: 1
	.section	.text._ZL20rocblas_hbmvn_kernelILi64ELi16EPK19rocblas_complex_numIfEPKS3_PKPS1_EvbiiT1_T2_lllSA_lllS9_T3_llli,"axG",@progbits,_ZL20rocblas_hbmvn_kernelILi64ELi16EPK19rocblas_complex_numIfEPKS3_PKPS1_EvbiiT1_T2_lllSA_lllS9_T3_llli,comdat
	.globl	_ZL20rocblas_hbmvn_kernelILi64ELi16EPK19rocblas_complex_numIfEPKS3_PKPS1_EvbiiT1_T2_lllSA_lllS9_T3_llli ; -- Begin function _ZL20rocblas_hbmvn_kernelILi64ELi16EPK19rocblas_complex_numIfEPKS3_PKPS1_EvbiiT1_T2_lllSA_lllS9_T3_llli
	.p2align	8
	.type	_ZL20rocblas_hbmvn_kernelILi64ELi16EPK19rocblas_complex_numIfEPKS3_PKPS1_EvbiiT1_T2_lllSA_lllS9_T3_llli,@function
_ZL20rocblas_hbmvn_kernelILi64ELi16EPK19rocblas_complex_numIfEPKS3_PKPS1_EvbiiT1_T2_lllSA_lllS9_T3_llli: ; @_ZL20rocblas_hbmvn_kernelILi64ELi16EPK19rocblas_complex_numIfEPKS3_PKPS1_EvbiiT1_T2_lllSA_lllS9_T3_llli
; %bb.0:
	s_load_dwordx2 s[0:1], s[4:5], 0x94
	s_mov_b32 s2, s7
	s_waitcnt lgkmcnt(0)
	s_lshr_b32 s3, s0, 16
	s_and_b32 s7, s0, 0xffff
	s_and_b32 s1, s1, 0xffff
	s_mul_i32 s0, s3, s7
	s_mul_i32 s0, s0, s1
	s_cmpk_lg_i32 s0, 0x400
	s_cbranch_scc1 .LBB4_54
; %bb.1:
	s_load_dwordx8 s[16:23], s[4:5], 0x10
	s_load_dwordx8 s[8:15], s[4:5], 0x58
	s_waitcnt lgkmcnt(0)
	s_load_dwordx2 s[26:27], s[16:17], 0x0
	s_load_dwordx2 s[24:25], s[8:9], 0x0
	s_waitcnt lgkmcnt(0)
	v_cmp_neq_f32_e64 s[0:1], s26, 0
	v_cmp_neq_f32_e64 s[8:9], s27, 0
	s_or_b64 s[8:9], s[0:1], s[8:9]
	s_mov_b64 s[0:1], -1
	s_and_b64 vcc, exec, s[8:9]
	s_cbranch_vccnz .LBB4_3
; %bb.2:
	v_cmp_neq_f32_e64 s[0:1], s24, 1.0
	v_cmp_neq_f32_e64 s[8:9], s25, 0
	s_or_b64 s[0:1], s[0:1], s[8:9]
.LBB4_3:
	s_andn2_b64 vcc, exec, s[0:1]
	s_cbranch_vccnz .LBB4_54
; %bb.4:
	s_or_b32 s0, s26, s27
	s_bitset0_b32 s0, 31
	s_cmp_lg_u32 s0, 0
	s_cselect_b64 s[30:31], -1, 0
	s_cmp_eq_u32 s0, 0
	s_mov_b32 s3, 0
	s_cselect_b64 s[8:9], -1, 0
	s_and_b64 vcc, exec, s[30:31]
	s_cbranch_vccnz .LBB4_6
; %bb.5:
	s_mov_b64 s[36:37], 0
	s_mov_b64 s[28:29], 0
	s_cbranch_execz .LBB4_7
	s_branch .LBB4_8
.LBB4_6:
	s_mov_b64 s[36:37], 0
	s_mov_b64 s[28:29], 0
.LBB4_7:
	s_lshl_b64 s[0:1], s[2:3], 3
	s_add_u32 s0, s18, s0
	s_addc_u32 s1, s19, s1
	s_load_dwordx2 s[0:1], s[0:1], 0x0
	s_lshl_b64 s[16:17], s[20:21], 3
	s_waitcnt lgkmcnt(0)
	s_add_u32 s28, s0, s16
	s_addc_u32 s29, s1, s17
.LBB4_8:
	s_load_dwordx4 s[16:19], s[4:5], 0x38
	s_load_dwordx2 s[38:39], s[4:5], 0x48
	v_cndmask_b32_e64 v2, 0, 1, s[30:31]
	v_cmp_ne_u32_e64 s[0:1], 1, v2
	s_andn2_b64 vcc, exec, s[30:31]
	s_cbranch_vccnz .LBB4_10
; %bb.9:
	s_lshl_b64 s[20:21], s[2:3], 3
	s_waitcnt lgkmcnt(0)
	s_add_u32 s16, s16, s20
	s_addc_u32 s17, s17, s21
	s_load_dwordx2 s[16:17], s[16:17], 0x0
	s_lshl_b64 s[18:19], s[18:19], 3
	s_waitcnt lgkmcnt(0)
	s_add_u32 s36, s16, s18
	s_addc_u32 s37, s17, s19
.LBB4_10:
	s_lshl_b64 s[2:3], s[2:3], 3
	s_add_u32 s2, s10, s2
	s_addc_u32 s3, s11, s3
	s_waitcnt lgkmcnt(0)
	s_load_dwordx4 s[16:19], s[4:5], 0x0
	s_load_dwordx2 s[10:11], s[2:3], 0x0
	s_and_b64 vcc, exec, s[0:1]
	v_mad_u32_u24 v14, v1, s7, v0
	s_cbranch_vccnz .LBB4_42
; %bb.11:
	v_lshrrev_b32_e32 v15, 6, v14
	s_waitcnt lgkmcnt(0)
	v_cmp_gt_i32_e32 vcc, s17, v15
	v_mov_b32_e32 v11, 0
	v_mov_b32_e32 v10, 0
	s_and_saveexec_b64 s[20:21], vcc
	s_cbranch_execz .LBB4_41
; %bb.12:
	s_lshl_b32 s7, s6, 6
	s_bitcmp1_b32 s16, 0
	s_cselect_b64 s[0:1], -1, 0
	s_and_b64 s[2:3], s[0:1], exec
	v_and_b32_e32 v10, 63, v14
	s_cselect_b32 s16, s18, 0
	s_xor_b64 s[30:31], s[0:1], -1
	v_or_b32_e32 v0, s7, v10
	s_cmp_eq_u32 s18, 0
	s_cselect_b64 s[4:5], -1, 0
	v_ashrrev_i32_e32 v1, 31, v0
	v_mad_u64_u32 v[2:3], s[34:35], s22, v0, 0
	v_mul_lo_u32 v6, s22, v1
	v_mul_lo_u32 v7, s23, v0
	s_or_b64 s[34:35], s[30:31], s[4:5]
	v_mad_u64_u32 v[4:5], s[4:5], s38, v15, 0
	v_add3_u32 v3, v3, v6, v7
	v_lshlrev_b64 v[2:3], 3, v[2:3]
	v_mad_u64_u32 v[5:6], s[4:5], s39, v15, v[5:6]
	v_mov_b32_e32 v16, s29
	v_add_co_u32_e32 v17, vcc, s28, v2
	v_mad_u64_u32 v[6:7], s[4:5], s22, v15, 0
	v_addc_co_u32_e32 v18, vcc, v16, v3, vcc
	v_lshlrev_b64 v[2:3], 3, v[4:5]
	v_mov_b32_e32 v4, s37
	v_add_co_u32_e32 v2, vcc, s36, v2
	v_addc_co_u32_e32 v3, vcc, v4, v3, vcc
	v_mov_b32_e32 v4, v7
	v_mad_u64_u32 v[7:8], s[4:5], s23, v15, v[4:5]
	s_lshl_b64 s[36:37], s[38:39], 7
	v_sub_u32_e32 v9, s16, v10
	s_lshl_b64 s[38:39], s[22:23], 7
	s_add_i32 s16, s18, s7
	s_lshl_b64 s[4:5], s[22:23], 3
	v_lshlrev_b64 v[4:5], 3, v[0:1]
	s_add_u32 s4, s4, -8
	v_mad_u64_u32 v[4:5], s[22:23], v15, s4, v[4:5]
	s_addc_u32 s4, s5, -1
	v_subrev_u32_e32 v1, s7, v9
	v_mad_u64_u32 v[8:9], s[4:5], v15, s4, v[5:6]
	v_lshlrev_b64 v[5:6], 3, v[6:7]
	v_add_u32_e32 v7, s16, v10
	v_sub_u32_e32 v11, v0, v15
	v_sub_u32_e32 v7, v7, v15
	s_add_u32 s7, s38, 0xffffff80
	v_cmp_gt_i32_e64 s[2:3], s17, v0
	v_mov_b32_e32 v19, v8
	s_addc_u32 s16, s39, -1
	v_mov_b32_e32 v9, 0
	s_mov_b64 s[22:23], 0
	v_cndmask_b32_e64 v20, v11, v7, s[0:1]
	s_mov_b64 s[40:41], 0
	v_mov_b32_e32 v11, 0
	v_mov_b32_e32 v10, 0
	s_branch .LBB4_16
.LBB4_13:                               ;   in Loop: Header=BB4_16 Depth=1
	s_or_b64 exec, exec, s[4:5]
.LBB4_14:                               ;   in Loop: Header=BB4_16 Depth=1
	s_or_b64 exec, exec, s[44:45]
.LBB4_15:                               ;   in Loop: Header=BB4_16 Depth=1
	s_or_b64 exec, exec, s[42:43]
	v_mov_b32_e32 v8, s37
	v_add_co_u32_e32 v2, vcc, s36, v2
	v_addc_co_u32_e32 v3, vcc, v3, v8, vcc
	v_mov_b32_e32 v8, s39
	v_add_co_u32_e32 v5, vcc, s38, v5
	v_add_u32_e32 v15, 16, v15
	v_addc_co_u32_e32 v6, vcc, v6, v8, vcc
	s_add_u32 s40, s40, -16
	s_addc_u32 s41, s41, -1
	v_cmp_le_i32_e32 vcc, s17, v15
	v_mov_b32_e32 v8, s16
	s_or_b64 s[22:23], vcc, s[22:23]
	v_add_co_u32_e32 v4, vcc, s7, v4
	v_add_u32_e32 v7, -16, v7
	v_addc_co_u32_e32 v19, vcc, v19, v8, vcc
	s_andn2_b64 exec, exec, s[22:23]
	s_cbranch_execz .LBB4_40
.LBB4_16:                               ; =>This Inner Loop Header: Depth=1
	s_and_saveexec_b64 s[42:43], s[2:3]
	s_cbranch_execz .LBB4_15
; %bb.17:                               ;   in Loop: Header=BB4_16 Depth=1
	v_cmp_gt_i32_e32 vcc, v0, v15
	v_cndmask_b32_e64 v8, 0, 1, vcc
	v_cmp_lt_i32_e32 vcc, v0, v15
	v_cndmask_b32_e64 v12, 0, 1, vcc
	v_cndmask_b32_e64 v8, v12, v8, s[0:1]
	v_and_b32_e32 v8, 1, v8
	v_cmp_eq_u32_e32 vcc, 1, v8
	s_xor_b64 s[4:5], vcc, -1
	s_and_saveexec_b64 s[44:45], s[4:5]
	s_xor_b64 s[44:45], exec, s[44:45]
	s_cbranch_execz .LBB4_37
; %bb.18:                               ;   in Loop: Header=BB4_16 Depth=1
	v_add_u32_e32 v8, s40, v20
	v_cmp_le_i32_e32 vcc, s18, v8
	v_cmp_gt_i32_e64 s[4:5], 1, v8
	s_or_b64 s[4:5], vcc, s[4:5]
	s_and_saveexec_b64 s[46:47], s[4:5]
	s_xor_b64 s[4:5], exec, s[46:47]
	s_cbranch_execz .LBB4_34
; %bb.19:                               ;   in Loop: Header=BB4_16 Depth=1
	v_cmp_ne_u32_e32 vcc, 0, v8
	s_and_saveexec_b64 s[46:47], vcc
	s_xor_b64 s[46:47], exec, s[46:47]
	s_cbranch_execz .LBB4_27
; %bb.20:                               ;   in Loop: Header=BB4_16 Depth=1
	v_cmp_eq_u32_e32 vcc, s18, v8
	s_and_saveexec_b64 s[48:49], vcc
	s_cbranch_execz .LBB4_26
; %bb.21:                               ;   in Loop: Header=BB4_16 Depth=1
	s_mov_b64 s[50:51], -1
	s_and_b64 vcc, exec, s[30:31]
                                        ; implicit-def: $vgpr8
                                        ; implicit-def: $vgpr12
	s_cbranch_vccz .LBB4_23
; %bb.22:                               ;   in Loop: Header=BB4_16 Depth=1
	v_add_co_u32_e32 v12, vcc, s28, v4
	v_addc_co_u32_e32 v13, vcc, v16, v19, vcc
	flat_load_dwordx2 v[21:22], v[2:3]
	flat_load_dwordx2 v[23:24], v[12:13]
	s_mov_b64 s[50:51], 0
	s_waitcnt vmcnt(0) lgkmcnt(0)
	v_mul_f32_e32 v8, v22, v24
	v_mul_f32_e32 v13, v21, v24
	v_fma_f32 v8, v21, v23, -v8
	v_fmac_f32_e32 v13, v22, v23
	v_add_f32_e32 v12, v10, v8
	v_add_f32_e32 v8, v11, v13
.LBB4_23:                               ;   in Loop: Header=BB4_16 Depth=1
	s_andn2_b64 vcc, exec, s[50:51]
	s_cbranch_vccnz .LBB4_25
; %bb.24:                               ;   in Loop: Header=BB4_16 Depth=1
	v_ashrrev_i32_e32 v8, 31, v7
	v_lshlrev_b64 v[12:13], 3, v[7:8]
	v_mov_b32_e32 v21, s29
	v_add_co_u32_e32 v8, vcc, v5, v12
	v_addc_co_u32_e32 v13, vcc, v6, v13, vcc
	v_add_co_u32_e32 v12, vcc, s28, v8
	v_addc_co_u32_e32 v13, vcc, v21, v13, vcc
	flat_load_dwordx2 v[21:22], v[2:3]
	flat_load_dword v8, v[12:13]
	s_waitcnt vmcnt(0) lgkmcnt(0)
	v_fmac_f32_e32 v10, v8, v21
	v_fmac_f32_e32 v11, v8, v22
	v_mov_b32_e32 v8, v11
	v_mov_b32_e32 v12, v10
.LBB4_25:                               ;   in Loop: Header=BB4_16 Depth=1
	v_mov_b32_e32 v11, v8
	v_mov_b32_e32 v10, v12
.LBB4_26:                               ;   in Loop: Header=BB4_16 Depth=1
	s_or_b64 exec, exec, s[48:49]
.LBB4_27:                               ;   in Loop: Header=BB4_16 Depth=1
	s_andn2_saveexec_b64 s[46:47], s[46:47]
	s_cbranch_execz .LBB4_33
; %bb.28:                               ;   in Loop: Header=BB4_16 Depth=1
	v_mov_b32_e32 v8, s29
	v_add_co_u32_e32 v12, vcc, s28, v5
	v_addc_co_u32_e32 v13, vcc, v8, v6, vcc
	s_andn2_b64 vcc, exec, s[34:35]
	s_mov_b64 s[48:49], -1
                                        ; implicit-def: $vgpr21
                                        ; implicit-def: $vgpr8
	s_cbranch_vccnz .LBB4_30
; %bb.29:                               ;   in Loop: Header=BB4_16 Depth=1
	flat_load_dword v23, v[12:13]
	flat_load_dwordx2 v[21:22], v[2:3]
	s_mov_b64 s[48:49], 0
	s_waitcnt vmcnt(0) lgkmcnt(0)
	v_fma_f32 v8, v23, v21, v10
	v_fma_f32 v21, v23, v22, v11
.LBB4_30:                               ;   in Loop: Header=BB4_16 Depth=1
	s_andn2_b64 vcc, exec, s[48:49]
	s_cbranch_vccnz .LBB4_32
; %bb.31:                               ;   in Loop: Header=BB4_16 Depth=1
	flat_load_dwordx2 v[21:22], v[12:13]
	flat_load_dwordx2 v[23:24], v[2:3]
	s_waitcnt vmcnt(0) lgkmcnt(0)
	v_mul_f32_e32 v8, v24, v22
	v_mul_f32_e32 v12, v23, v22
	v_fma_f32 v8, v23, v21, -v8
	v_fmac_f32_e32 v12, v24, v21
	v_add_f32_e32 v8, v10, v8
	v_add_f32_e32 v21, v11, v12
.LBB4_32:                               ;   in Loop: Header=BB4_16 Depth=1
	v_mov_b32_e32 v11, v21
	v_mov_b32_e32 v10, v8
.LBB4_33:                               ;   in Loop: Header=BB4_16 Depth=1
	s_or_b64 exec, exec, s[46:47]
.LBB4_34:                               ;   in Loop: Header=BB4_16 Depth=1
	s_andn2_saveexec_b64 s[4:5], s[4:5]
	s_cbranch_execz .LBB4_36
; %bb.35:                               ;   in Loop: Header=BB4_16 Depth=1
	v_lshlrev_b64 v[12:13], 3, v[8:9]
	v_mov_b32_e32 v21, s29
	v_add_co_u32_e32 v8, vcc, v5, v12
	v_addc_co_u32_e32 v13, vcc, v6, v13, vcc
	v_add_co_u32_e32 v12, vcc, s28, v8
	v_addc_co_u32_e32 v13, vcc, v21, v13, vcc
	flat_load_dwordx2 v[21:22], v[2:3]
	flat_load_dwordx2 v[23:24], v[12:13]
	s_waitcnt vmcnt(0) lgkmcnt(0)
	v_mul_f32_e32 v8, v22, v24
	v_mul_f32_e32 v12, v21, v24
	v_fma_f32 v8, v21, v23, -v8
	v_fmac_f32_e32 v12, v22, v23
	v_add_f32_e32 v10, v10, v8
	v_add_f32_e32 v11, v11, v12
.LBB4_36:                               ;   in Loop: Header=BB4_16 Depth=1
	s_or_b64 exec, exec, s[4:5]
.LBB4_37:                               ;   in Loop: Header=BB4_16 Depth=1
	s_andn2_saveexec_b64 s[44:45], s[44:45]
	s_cbranch_execz .LBB4_14
; %bb.38:                               ;   in Loop: Header=BB4_16 Depth=1
	v_add_u32_e32 v8, v1, v15
	v_cmp_ge_i32_e32 vcc, s18, v8
	v_cmp_lt_i32_e64 s[4:5], -1, v8
	s_and_b64 s[46:47], vcc, s[4:5]
	s_and_saveexec_b64 s[4:5], s[46:47]
	s_cbranch_execz .LBB4_13
; %bb.39:                               ;   in Loop: Header=BB4_16 Depth=1
	v_lshlrev_b64 v[12:13], 3, v[8:9]
	v_add_co_u32_e32 v12, vcc, v17, v12
	v_addc_co_u32_e32 v13, vcc, v18, v13, vcc
	flat_load_dwordx2 v[21:22], v[2:3]
	flat_load_dwordx2 v[23:24], v[12:13]
	s_waitcnt vmcnt(0) lgkmcnt(0)
	v_mul_f32_e32 v8, v24, v22
	v_mul_f32_e32 v12, v24, v21
	v_fmac_f32_e32 v8, v23, v21
	v_fma_f32 v12, v23, v22, -v12
	v_add_f32_e32 v10, v10, v8
	v_add_f32_e32 v11, v11, v12
	s_branch .LBB4_13
.LBB4_40:
	s_or_b64 exec, exec, s[22:23]
.LBB4_41:
	s_or_b64 exec, exec, s[20:21]
	v_lshlrev_b32_e32 v0, 3, v14
	ds_write_b64 v0, v[10:11]
	s_waitcnt lgkmcnt(0)
	s_barrier
.LBB4_42:
	v_cmp_gt_u32_e32 vcc, 64, v14
	s_and_saveexec_b64 s[0:1], vcc
	s_cbranch_execz .LBB4_54
; %bb.43:
	s_lshl_b64 s[0:1], s[12:13], 3
	s_waitcnt lgkmcnt(0)
	s_add_u32 s4, s10, s0
	v_lshl_or_b32 v4, s6, 6, v14
	s_addc_u32 s5, s11, s1
	s_mov_b64 s[2:3], -1
	s_and_b64 vcc, exec, s[8:9]
	v_cmp_gt_i32_e64 s[0:1], s17, v4
	s_cbranch_vccz .LBB4_49
; %bb.44:
	s_and_saveexec_b64 s[2:3], s[0:1]
	s_cbranch_execz .LBB4_48
; %bb.45:
	v_ashrrev_i32_e32 v0, 31, v4
	v_mul_lo_u32 v5, s15, v4
	v_mul_lo_u32 v0, s14, v0
	v_mad_u64_u32 v[2:3], s[0:1], s14, v4, 0
	v_cmp_neq_f32_e64 s[0:1], s24, 0
	v_cmp_neq_f32_e64 s[6:7], s25, 0
	v_add3_u32 v3, v3, v0, v5
	s_or_b64 s[0:1], s[0:1], s[6:7]
	v_lshlrev_b64 v[2:3], 3, v[2:3]
	v_mov_b32_e32 v1, 0
	s_andn2_b64 vcc, exec, s[0:1]
	v_mov_b32_e32 v0, 0
	s_cbranch_vccnz .LBB4_47
; %bb.46:
	v_mov_b32_e32 v1, s5
	v_add_co_u32_e32 v0, vcc, s4, v2
	v_addc_co_u32_e32 v1, vcc, v1, v3, vcc
	flat_load_dwordx2 v[5:6], v[0:1]
	s_waitcnt vmcnt(0) lgkmcnt(0)
	v_mul_f32_e32 v0, s25, v6
	v_mul_f32_e32 v1, s24, v6
	v_fma_f32 v0, s24, v5, -v0
	v_fmac_f32_e32 v1, s25, v5
.LBB4_47:
	v_mov_b32_e32 v5, s5
	v_add_co_u32_e32 v2, vcc, s4, v2
	v_addc_co_u32_e32 v3, vcc, v5, v3, vcc
	flat_store_dwordx2 v[2:3], v[0:1]
.LBB4_48:
	s_or_b64 exec, exec, s[2:3]
	s_mov_b64 s[2:3], 0
.LBB4_49:
	s_andn2_b64 vcc, exec, s[2:3]
	s_cbranch_vccnz .LBB4_54
; %bb.50:
	v_lshlrev_b32_e32 v13, 3, v14
	ds_read2st64_b64 v[0:3], v13 offset1:1
	ds_read2st64_b64 v[5:8], v13 offset0:2 offset1:3
	ds_read2st64_b64 v[9:12], v13 offset0:4 offset1:5
	v_cmp_gt_i32_e32 vcc, s17, v4
	s_waitcnt lgkmcnt(0)
	v_add_f32_e32 v0, v0, v2
	v_add_f32_e32 v1, v1, v3
	;; [unrolled: 1-line block ×6, first 2 shown]
	ds_read2st64_b64 v[0:3], v13 offset0:6 offset1:7
	v_add_f32_e32 v5, v5, v9
	v_add_f32_e32 v6, v6, v10
	;; [unrolled: 1-line block ×4, first 2 shown]
	s_waitcnt lgkmcnt(0)
	v_add_f32_e32 v0, v5, v0
	ds_read2st64_b64 v[5:8], v13 offset0:8 offset1:9
	v_add_f32_e32 v1, v9, v1
	v_add_f32_e32 v9, v0, v2
	;; [unrolled: 1-line block ×3, first 2 shown]
	ds_read2st64_b64 v[0:3], v13 offset0:10 offset1:11
	s_waitcnt lgkmcnt(0)
	v_add_f32_e32 v5, v9, v5
	v_add_f32_e32 v6, v10, v6
	;; [unrolled: 1-line block ×5, first 2 shown]
	ds_read2st64_b64 v[5:8], v13 offset0:12 offset1:13
	v_add_f32_e32 v1, v9, v1
	v_add_f32_e32 v9, v0, v2
	;; [unrolled: 1-line block ×3, first 2 shown]
	ds_read2st64_b64 v[0:3], v13 offset0:14 offset1:15
	s_waitcnt lgkmcnt(0)
	v_add_f32_e32 v5, v9, v5
	v_add_f32_e32 v6, v10, v6
	v_add_f32_e32 v5, v5, v7
	v_add_f32_e32 v6, v6, v8
	v_add_f32_e32 v0, v5, v0
	v_add_f32_e32 v1, v6, v1
	v_add_f32_e32 v2, v0, v2
	v_add_f32_e32 v3, v1, v3
	ds_write_b64 v13, v[2:3]
	s_and_b64 exec, exec, vcc
	s_cbranch_execz .LBB4_54
; %bb.51:
	v_ashrrev_i32_e32 v0, 31, v4
	v_mul_lo_u32 v6, s15, v4
	v_mul_lo_u32 v7, s14, v0
	v_mad_u64_u32 v[4:5], s[6:7], s14, v4, 0
	v_cmp_neq_f32_e64 s[0:1], s24, 0
	v_cmp_neq_f32_e64 s[2:3], s25, 0
	v_add3_u32 v5, v5, v7, v6
	v_mul_f32_e32 v0, s27, v3
	v_mul_f32_e32 v1, s26, v3
	s_or_b64 s[0:1], s[0:1], s[2:3]
	v_lshlrev_b64 v[3:4], 3, v[4:5]
	v_fma_f32 v0, v2, s26, -v0
	s_andn2_b64 vcc, exec, s[0:1]
	v_fmac_f32_e32 v1, s27, v2
	s_cbranch_vccnz .LBB4_53
; %bb.52:
	v_mov_b32_e32 v2, s5
	v_add_co_u32_e32 v5, vcc, s4, v3
	v_addc_co_u32_e32 v6, vcc, v2, v4, vcc
	flat_load_dwordx2 v[5:6], v[5:6]
	s_waitcnt vmcnt(0) lgkmcnt(0)
	v_mul_f32_e32 v2, s25, v6
	v_mul_f32_e32 v6, s24, v6
	v_fma_f32 v2, s24, v5, -v2
	v_fmac_f32_e32 v6, s25, v5
	v_add_f32_e32 v0, v0, v2
	v_add_f32_e32 v1, v1, v6
.LBB4_53:
	v_mov_b32_e32 v5, s5
	v_add_co_u32_e32 v2, vcc, s4, v3
	v_addc_co_u32_e32 v3, vcc, v5, v4, vcc
	flat_store_dwordx2 v[2:3], v[0:1]
.LBB4_54:
	s_endpgm
	.section	.rodata,"a",@progbits
	.p2align	6, 0x0
	.amdhsa_kernel _ZL20rocblas_hbmvn_kernelILi64ELi16EPK19rocblas_complex_numIfEPKS3_PKPS1_EvbiiT1_T2_lllSA_lllS9_T3_llli
		.amdhsa_group_segment_fixed_size 8192
		.amdhsa_private_segment_fixed_size 0
		.amdhsa_kernarg_size 392
		.amdhsa_user_sgpr_count 6
		.amdhsa_user_sgpr_private_segment_buffer 1
		.amdhsa_user_sgpr_dispatch_ptr 0
		.amdhsa_user_sgpr_queue_ptr 0
		.amdhsa_user_sgpr_kernarg_segment_ptr 1
		.amdhsa_user_sgpr_dispatch_id 0
		.amdhsa_user_sgpr_flat_scratch_init 0
		.amdhsa_user_sgpr_private_segment_size 0
		.amdhsa_uses_dynamic_stack 0
		.amdhsa_system_sgpr_private_segment_wavefront_offset 0
		.amdhsa_system_sgpr_workgroup_id_x 1
		.amdhsa_system_sgpr_workgroup_id_y 0
		.amdhsa_system_sgpr_workgroup_id_z 1
		.amdhsa_system_sgpr_workgroup_info 0
		.amdhsa_system_vgpr_workitem_id 1
		.amdhsa_next_free_vgpr 29
		.amdhsa_next_free_sgpr 61
		.amdhsa_reserve_vcc 1
		.amdhsa_reserve_flat_scratch 0
		.amdhsa_float_round_mode_32 0
		.amdhsa_float_round_mode_16_64 0
		.amdhsa_float_denorm_mode_32 3
		.amdhsa_float_denorm_mode_16_64 3
		.amdhsa_dx10_clamp 1
		.amdhsa_ieee_mode 1
		.amdhsa_fp16_overflow 0
		.amdhsa_exception_fp_ieee_invalid_op 0
		.amdhsa_exception_fp_denorm_src 0
		.amdhsa_exception_fp_ieee_div_zero 0
		.amdhsa_exception_fp_ieee_overflow 0
		.amdhsa_exception_fp_ieee_underflow 0
		.amdhsa_exception_fp_ieee_inexact 0
		.amdhsa_exception_int_div_zero 0
	.end_amdhsa_kernel
	.section	.text._ZL20rocblas_hbmvn_kernelILi64ELi16EPK19rocblas_complex_numIfEPKS3_PKPS1_EvbiiT1_T2_lllSA_lllS9_T3_llli,"axG",@progbits,_ZL20rocblas_hbmvn_kernelILi64ELi16EPK19rocblas_complex_numIfEPKS3_PKPS1_EvbiiT1_T2_lllSA_lllS9_T3_llli,comdat
.Lfunc_end4:
	.size	_ZL20rocblas_hbmvn_kernelILi64ELi16EPK19rocblas_complex_numIfEPKS3_PKPS1_EvbiiT1_T2_lllSA_lllS9_T3_llli, .Lfunc_end4-_ZL20rocblas_hbmvn_kernelILi64ELi16EPK19rocblas_complex_numIfEPKS3_PKPS1_EvbiiT1_T2_lllSA_lllS9_T3_llli
                                        ; -- End function
	.set _ZL20rocblas_hbmvn_kernelILi64ELi16EPK19rocblas_complex_numIfEPKS3_PKPS1_EvbiiT1_T2_lllSA_lllS9_T3_llli.num_vgpr, 25
	.set _ZL20rocblas_hbmvn_kernelILi64ELi16EPK19rocblas_complex_numIfEPKS3_PKPS1_EvbiiT1_T2_lllSA_lllS9_T3_llli.num_agpr, 0
	.set _ZL20rocblas_hbmvn_kernelILi64ELi16EPK19rocblas_complex_numIfEPKS3_PKPS1_EvbiiT1_T2_lllSA_lllS9_T3_llli.numbered_sgpr, 52
	.set _ZL20rocblas_hbmvn_kernelILi64ELi16EPK19rocblas_complex_numIfEPKS3_PKPS1_EvbiiT1_T2_lllSA_lllS9_T3_llli.num_named_barrier, 0
	.set _ZL20rocblas_hbmvn_kernelILi64ELi16EPK19rocblas_complex_numIfEPKS3_PKPS1_EvbiiT1_T2_lllSA_lllS9_T3_llli.private_seg_size, 0
	.set _ZL20rocblas_hbmvn_kernelILi64ELi16EPK19rocblas_complex_numIfEPKS3_PKPS1_EvbiiT1_T2_lllSA_lllS9_T3_llli.uses_vcc, 1
	.set _ZL20rocblas_hbmvn_kernelILi64ELi16EPK19rocblas_complex_numIfEPKS3_PKPS1_EvbiiT1_T2_lllSA_lllS9_T3_llli.uses_flat_scratch, 0
	.set _ZL20rocblas_hbmvn_kernelILi64ELi16EPK19rocblas_complex_numIfEPKS3_PKPS1_EvbiiT1_T2_lllSA_lllS9_T3_llli.has_dyn_sized_stack, 0
	.set _ZL20rocblas_hbmvn_kernelILi64ELi16EPK19rocblas_complex_numIfEPKS3_PKPS1_EvbiiT1_T2_lllSA_lllS9_T3_llli.has_recursion, 0
	.set _ZL20rocblas_hbmvn_kernelILi64ELi16EPK19rocblas_complex_numIfEPKS3_PKPS1_EvbiiT1_T2_lllSA_lllS9_T3_llli.has_indirect_call, 0
	.section	.AMDGPU.csdata,"",@progbits
; Kernel info:
; codeLenInByte = 2032
; TotalNumSgprs: 56
; NumVgprs: 25
; ScratchSize: 0
; MemoryBound: 0
; FloatMode: 240
; IeeeMode: 1
; LDSByteSize: 8192 bytes/workgroup (compile time only)
; SGPRBlocks: 8
; VGPRBlocks: 7
; NumSGPRsForWavesPerEU: 65
; NumVGPRsForWavesPerEU: 29
; Occupancy: 8
; WaveLimiterHint : 1
; COMPUTE_PGM_RSRC2:SCRATCH_EN: 0
; COMPUTE_PGM_RSRC2:USER_SGPR: 6
; COMPUTE_PGM_RSRC2:TRAP_HANDLER: 0
; COMPUTE_PGM_RSRC2:TGID_X_EN: 1
; COMPUTE_PGM_RSRC2:TGID_Y_EN: 0
; COMPUTE_PGM_RSRC2:TGID_Z_EN: 1
; COMPUTE_PGM_RSRC2:TIDIG_COMP_CNT: 1
	.section	.text._ZL20rocblas_hbmvn_kernelILi64ELi16E19rocblas_complex_numIfEPKPKS1_PKPS1_EvbiiT1_T2_lllSA_lllS9_T3_llli,"axG",@progbits,_ZL20rocblas_hbmvn_kernelILi64ELi16E19rocblas_complex_numIfEPKPKS1_PKPS1_EvbiiT1_T2_lllSA_lllS9_T3_llli,comdat
	.globl	_ZL20rocblas_hbmvn_kernelILi64ELi16E19rocblas_complex_numIfEPKPKS1_PKPS1_EvbiiT1_T2_lllSA_lllS9_T3_llli ; -- Begin function _ZL20rocblas_hbmvn_kernelILi64ELi16E19rocblas_complex_numIfEPKPKS1_PKPS1_EvbiiT1_T2_lllSA_lllS9_T3_llli
	.p2align	8
	.type	_ZL20rocblas_hbmvn_kernelILi64ELi16E19rocblas_complex_numIfEPKPKS1_PKPS1_EvbiiT1_T2_lllSA_lllS9_T3_llli,@function
_ZL20rocblas_hbmvn_kernelILi64ELi16E19rocblas_complex_numIfEPKPKS1_PKPS1_EvbiiT1_T2_lllSA_lllS9_T3_llli: ; @_ZL20rocblas_hbmvn_kernelILi64ELi16E19rocblas_complex_numIfEPKPKS1_PKPS1_EvbiiT1_T2_lllSA_lllS9_T3_llli
; %bb.0:
	s_load_dwordx2 s[0:1], s[4:5], 0x94
	s_waitcnt lgkmcnt(0)
	s_lshr_b32 s2, s0, 16
	s_and_b32 s26, s0, 0xffff
	s_and_b32 s1, s1, 0xffff
	s_mul_i32 s0, s2, s26
	s_mul_i32 s0, s0, s1
	s_cmpk_lg_i32 s0, 0x400
	s_cbranch_scc1 .LBB5_54
; %bb.1:
	s_mov_b32 s24, s7
	s_load_dwordx4 s[8:11], s[4:5], 0x0
	s_load_dword s7, s[4:5], 0x10
	s_load_dwordx2 s[16:17], s[4:5], 0x58
	s_waitcnt lgkmcnt(0)
	v_cmp_neq_f32_e64 s[0:1], s11, 0
	v_cmp_neq_f32_e64 s[2:3], s7, 0
	s_or_b64 s[2:3], s[0:1], s[2:3]
	s_mov_b64 s[0:1], -1
	s_and_b64 vcc, exec, s[2:3]
	s_cbranch_vccnz .LBB5_3
; %bb.2:
	v_cmp_neq_f32_e64 s[0:1], s16, 1.0
	v_cmp_neq_f32_e64 s[2:3], s17, 0
	s_or_b64 s[0:1], s[0:1], s[2:3]
.LBB5_3:
	s_andn2_b64 vcc, exec, s[0:1]
	s_cbranch_vccnz .LBB5_54
; %bb.4:
	s_load_dwordx4 s[0:3], s[4:5], 0x18
	s_load_dwordx2 s[36:37], s[4:5], 0x28
	s_or_b32 s12, s11, s7
	s_bitset0_b32 s12, 31
	s_cmp_lg_u32 s12, 0
	s_cselect_b64 s[18:19], -1, 0
	s_cmp_eq_u32 s12, 0
	s_mov_b32 s25, 0
	s_cselect_b64 s[20:21], -1, 0
	s_and_b64 vcc, exec, s[18:19]
	s_cbranch_vccnz .LBB5_6
; %bb.5:
	s_mov_b64 s[30:31], 0
	s_mov_b64 s[22:23], 0
	s_cbranch_execz .LBB5_7
	s_branch .LBB5_8
.LBB5_6:
	s_mov_b64 s[30:31], 0
	s_mov_b64 s[22:23], 0
.LBB5_7:
	s_lshl_b64 s[12:13], s[24:25], 3
	s_waitcnt lgkmcnt(0)
	s_add_u32 s0, s0, s12
	s_addc_u32 s1, s1, s13
	s_load_dwordx2 s[0:1], s[0:1], 0x0
	s_lshl_b64 s[2:3], s[2:3], 3
	s_waitcnt lgkmcnt(0)
	s_add_u32 s22, s0, s2
	s_addc_u32 s23, s1, s3
.LBB5_8:
	s_load_dwordx4 s[12:15], s[4:5], 0x38
	s_load_dwordx2 s[34:35], s[4:5], 0x48
	v_cndmask_b32_e64 v2, 0, 1, s[18:19]
	s_waitcnt lgkmcnt(0)
	v_cmp_ne_u32_e64 s[0:1], 1, v2
	s_andn2_b64 vcc, exec, s[18:19]
	s_cbranch_vccnz .LBB5_10
; %bb.9:
	s_lshl_b64 s[2:3], s[24:25], 3
	s_add_u32 s2, s12, s2
	s_addc_u32 s3, s13, s3
	s_load_dwordx2 s[2:3], s[2:3], 0x0
	s_lshl_b64 s[12:13], s[14:15], 3
	s_waitcnt lgkmcnt(0)
	s_add_u32 s30, s2, s12
	s_addc_u32 s31, s3, s13
.LBB5_10:
	s_load_dwordx4 s[12:15], s[4:5], 0x60
	s_load_dwordx2 s[18:19], s[4:5], 0x70
	s_lshl_b64 s[2:3], s[24:25], 3
	v_mad_u32_u24 v14, v1, s26, v0
	s_waitcnt lgkmcnt(0)
	s_add_u32 s2, s12, s2
	s_addc_u32 s3, s13, s3
	s_load_dwordx2 s[12:13], s[2:3], 0x0
	s_and_b64 vcc, exec, s[0:1]
	s_cbranch_vccnz .LBB5_42
; %bb.11:
	v_lshrrev_b32_e32 v15, 6, v14
	v_cmp_gt_i32_e32 vcc, s9, v15
	v_mov_b32_e32 v11, 0
	v_mov_b32_e32 v10, 0
	s_and_saveexec_b64 s[24:25], vcc
	s_cbranch_execz .LBB5_41
; %bb.12:
	s_lshl_b32 s33, s6, 6
	s_bitcmp1_b32 s8, 0
	s_cselect_b64 s[0:1], -1, 0
	s_and_b64 s[2:3], s[0:1], exec
	v_and_b32_e32 v10, 63, v14
	s_cselect_b32 s8, s10, 0
	s_xor_b64 s[26:27], s[0:1], -1
	v_or_b32_e32 v0, s33, v10
	s_cmp_eq_u32 s10, 0
	s_cselect_b64 s[4:5], -1, 0
	v_ashrrev_i32_e32 v1, 31, v0
	v_mad_u64_u32 v[2:3], s[28:29], s36, v0, 0
	v_mul_lo_u32 v6, s36, v1
	v_mul_lo_u32 v7, s37, v0
	s_or_b64 s[28:29], s[26:27], s[4:5]
	v_mad_u64_u32 v[4:5], s[4:5], s34, v15, 0
	v_add3_u32 v3, v3, v6, v7
	v_lshlrev_b64 v[2:3], 3, v[2:3]
	v_mad_u64_u32 v[5:6], s[4:5], s35, v15, v[5:6]
	v_mov_b32_e32 v16, s23
	v_add_co_u32_e32 v17, vcc, s22, v2
	v_mad_u64_u32 v[6:7], s[4:5], s36, v15, 0
	v_addc_co_u32_e32 v18, vcc, v16, v3, vcc
	v_lshlrev_b64 v[2:3], 3, v[4:5]
	v_mov_b32_e32 v4, s31
	v_add_co_u32_e32 v2, vcc, s30, v2
	v_addc_co_u32_e32 v3, vcc, v4, v3, vcc
	v_mov_b32_e32 v4, v7
	v_mad_u64_u32 v[7:8], s[4:5], s37, v15, v[4:5]
	s_lshl_b64 s[30:31], s[34:35], 7
	v_sub_u32_e32 v9, s8, v10
	s_lshl_b64 s[34:35], s[36:37], 7
	s_add_i32 s8, s10, s33
	s_lshl_b64 s[4:5], s[36:37], 3
	v_lshlrev_b64 v[4:5], 3, v[0:1]
	s_add_u32 s4, s4, -8
	v_mad_u64_u32 v[4:5], s[36:37], v15, s4, v[4:5]
	s_addc_u32 s4, s5, -1
	v_subrev_u32_e32 v1, s33, v9
	v_mad_u64_u32 v[8:9], s[4:5], v15, s4, v[5:6]
	v_lshlrev_b64 v[5:6], 3, v[6:7]
	v_add_u32_e32 v7, s8, v10
	v_sub_u32_e32 v11, v0, v15
	v_sub_u32_e32 v7, v7, v15
	s_add_u32 s8, s34, 0xffffff80
	v_cmp_gt_i32_e64 s[2:3], s9, v0
	v_mov_b32_e32 v19, v8
	s_addc_u32 s33, s35, -1
	v_mov_b32_e32 v9, 0
	s_mov_b64 s[36:37], 0
	v_cndmask_b32_e64 v20, v11, v7, s[0:1]
	s_mov_b64 s[38:39], 0
	v_mov_b32_e32 v11, 0
	v_mov_b32_e32 v10, 0
	s_branch .LBB5_16
.LBB5_13:                               ;   in Loop: Header=BB5_16 Depth=1
	s_or_b64 exec, exec, s[4:5]
.LBB5_14:                               ;   in Loop: Header=BB5_16 Depth=1
	s_or_b64 exec, exec, s[42:43]
.LBB5_15:                               ;   in Loop: Header=BB5_16 Depth=1
	s_or_b64 exec, exec, s[40:41]
	v_mov_b32_e32 v8, s31
	v_add_co_u32_e32 v2, vcc, s30, v2
	v_addc_co_u32_e32 v3, vcc, v3, v8, vcc
	v_mov_b32_e32 v8, s35
	v_add_co_u32_e32 v5, vcc, s34, v5
	v_add_u32_e32 v15, 16, v15
	v_addc_co_u32_e32 v6, vcc, v6, v8, vcc
	s_add_u32 s38, s38, -16
	s_addc_u32 s39, s39, -1
	v_cmp_le_i32_e32 vcc, s9, v15
	v_mov_b32_e32 v8, s33
	s_or_b64 s[36:37], vcc, s[36:37]
	v_add_co_u32_e32 v4, vcc, s8, v4
	v_add_u32_e32 v7, -16, v7
	v_addc_co_u32_e32 v19, vcc, v19, v8, vcc
	s_andn2_b64 exec, exec, s[36:37]
	s_cbranch_execz .LBB5_40
.LBB5_16:                               ; =>This Inner Loop Header: Depth=1
	s_and_saveexec_b64 s[40:41], s[2:3]
	s_cbranch_execz .LBB5_15
; %bb.17:                               ;   in Loop: Header=BB5_16 Depth=1
	v_cmp_gt_i32_e32 vcc, v0, v15
	v_cndmask_b32_e64 v8, 0, 1, vcc
	v_cmp_lt_i32_e32 vcc, v0, v15
	v_cndmask_b32_e64 v12, 0, 1, vcc
	v_cndmask_b32_e64 v8, v12, v8, s[0:1]
	v_and_b32_e32 v8, 1, v8
	v_cmp_eq_u32_e32 vcc, 1, v8
	s_xor_b64 s[4:5], vcc, -1
	s_and_saveexec_b64 s[42:43], s[4:5]
	s_xor_b64 s[42:43], exec, s[42:43]
	s_cbranch_execz .LBB5_37
; %bb.18:                               ;   in Loop: Header=BB5_16 Depth=1
	v_add_u32_e32 v8, s38, v20
	v_cmp_le_i32_e32 vcc, s10, v8
	v_cmp_gt_i32_e64 s[4:5], 1, v8
	s_or_b64 s[4:5], vcc, s[4:5]
	s_and_saveexec_b64 s[44:45], s[4:5]
	s_xor_b64 s[4:5], exec, s[44:45]
	s_cbranch_execz .LBB5_34
; %bb.19:                               ;   in Loop: Header=BB5_16 Depth=1
	v_cmp_ne_u32_e32 vcc, 0, v8
	s_and_saveexec_b64 s[44:45], vcc
	s_xor_b64 s[44:45], exec, s[44:45]
	s_cbranch_execz .LBB5_27
; %bb.20:                               ;   in Loop: Header=BB5_16 Depth=1
	v_cmp_eq_u32_e32 vcc, s10, v8
	s_and_saveexec_b64 s[46:47], vcc
	s_cbranch_execz .LBB5_26
; %bb.21:                               ;   in Loop: Header=BB5_16 Depth=1
	s_mov_b64 s[48:49], -1
	s_and_b64 vcc, exec, s[26:27]
                                        ; implicit-def: $vgpr8
                                        ; implicit-def: $vgpr12
	s_cbranch_vccz .LBB5_23
; %bb.22:                               ;   in Loop: Header=BB5_16 Depth=1
	v_add_co_u32_e32 v12, vcc, s22, v4
	v_addc_co_u32_e32 v13, vcc, v16, v19, vcc
	flat_load_dwordx2 v[21:22], v[2:3]
	flat_load_dwordx2 v[23:24], v[12:13]
	s_mov_b64 s[48:49], 0
	s_waitcnt vmcnt(0) lgkmcnt(0)
	v_mul_f32_e32 v8, v22, v24
	v_mul_f32_e32 v13, v21, v24
	v_fma_f32 v8, v21, v23, -v8
	v_fmac_f32_e32 v13, v22, v23
	v_add_f32_e32 v12, v10, v8
	v_add_f32_e32 v8, v11, v13
.LBB5_23:                               ;   in Loop: Header=BB5_16 Depth=1
	s_andn2_b64 vcc, exec, s[48:49]
	s_cbranch_vccnz .LBB5_25
; %bb.24:                               ;   in Loop: Header=BB5_16 Depth=1
	v_ashrrev_i32_e32 v8, 31, v7
	v_lshlrev_b64 v[12:13], 3, v[7:8]
	v_mov_b32_e32 v21, s23
	v_add_co_u32_e32 v8, vcc, v5, v12
	v_addc_co_u32_e32 v13, vcc, v6, v13, vcc
	v_add_co_u32_e32 v12, vcc, s22, v8
	v_addc_co_u32_e32 v13, vcc, v21, v13, vcc
	flat_load_dwordx2 v[21:22], v[2:3]
	flat_load_dword v8, v[12:13]
	s_waitcnt vmcnt(0) lgkmcnt(0)
	v_fmac_f32_e32 v10, v8, v21
	v_fmac_f32_e32 v11, v8, v22
	v_mov_b32_e32 v8, v11
	v_mov_b32_e32 v12, v10
.LBB5_25:                               ;   in Loop: Header=BB5_16 Depth=1
	v_mov_b32_e32 v11, v8
	v_mov_b32_e32 v10, v12
.LBB5_26:                               ;   in Loop: Header=BB5_16 Depth=1
	s_or_b64 exec, exec, s[46:47]
.LBB5_27:                               ;   in Loop: Header=BB5_16 Depth=1
	s_andn2_saveexec_b64 s[44:45], s[44:45]
	s_cbranch_execz .LBB5_33
; %bb.28:                               ;   in Loop: Header=BB5_16 Depth=1
	v_mov_b32_e32 v8, s23
	v_add_co_u32_e32 v12, vcc, s22, v5
	v_addc_co_u32_e32 v13, vcc, v8, v6, vcc
	s_andn2_b64 vcc, exec, s[28:29]
	s_mov_b64 s[46:47], -1
                                        ; implicit-def: $vgpr21
                                        ; implicit-def: $vgpr8
	s_cbranch_vccnz .LBB5_30
; %bb.29:                               ;   in Loop: Header=BB5_16 Depth=1
	flat_load_dword v23, v[12:13]
	flat_load_dwordx2 v[21:22], v[2:3]
	s_mov_b64 s[46:47], 0
	s_waitcnt vmcnt(0) lgkmcnt(0)
	v_fma_f32 v8, v23, v21, v10
	v_fma_f32 v21, v23, v22, v11
.LBB5_30:                               ;   in Loop: Header=BB5_16 Depth=1
	s_andn2_b64 vcc, exec, s[46:47]
	s_cbranch_vccnz .LBB5_32
; %bb.31:                               ;   in Loop: Header=BB5_16 Depth=1
	flat_load_dwordx2 v[21:22], v[12:13]
	flat_load_dwordx2 v[23:24], v[2:3]
	s_waitcnt vmcnt(0) lgkmcnt(0)
	v_mul_f32_e32 v8, v24, v22
	v_mul_f32_e32 v12, v23, v22
	v_fma_f32 v8, v23, v21, -v8
	v_fmac_f32_e32 v12, v24, v21
	v_add_f32_e32 v8, v10, v8
	v_add_f32_e32 v21, v11, v12
.LBB5_32:                               ;   in Loop: Header=BB5_16 Depth=1
	v_mov_b32_e32 v11, v21
	v_mov_b32_e32 v10, v8
.LBB5_33:                               ;   in Loop: Header=BB5_16 Depth=1
	s_or_b64 exec, exec, s[44:45]
.LBB5_34:                               ;   in Loop: Header=BB5_16 Depth=1
	s_andn2_saveexec_b64 s[4:5], s[4:5]
	s_cbranch_execz .LBB5_36
; %bb.35:                               ;   in Loop: Header=BB5_16 Depth=1
	v_lshlrev_b64 v[12:13], 3, v[8:9]
	v_mov_b32_e32 v21, s23
	v_add_co_u32_e32 v8, vcc, v5, v12
	v_addc_co_u32_e32 v13, vcc, v6, v13, vcc
	v_add_co_u32_e32 v12, vcc, s22, v8
	v_addc_co_u32_e32 v13, vcc, v21, v13, vcc
	flat_load_dwordx2 v[21:22], v[2:3]
	flat_load_dwordx2 v[23:24], v[12:13]
	s_waitcnt vmcnt(0) lgkmcnt(0)
	v_mul_f32_e32 v8, v22, v24
	v_mul_f32_e32 v12, v21, v24
	v_fma_f32 v8, v21, v23, -v8
	v_fmac_f32_e32 v12, v22, v23
	v_add_f32_e32 v10, v10, v8
	v_add_f32_e32 v11, v11, v12
.LBB5_36:                               ;   in Loop: Header=BB5_16 Depth=1
	s_or_b64 exec, exec, s[4:5]
.LBB5_37:                               ;   in Loop: Header=BB5_16 Depth=1
	s_andn2_saveexec_b64 s[42:43], s[42:43]
	s_cbranch_execz .LBB5_14
; %bb.38:                               ;   in Loop: Header=BB5_16 Depth=1
	v_add_u32_e32 v8, v1, v15
	v_cmp_ge_i32_e32 vcc, s10, v8
	v_cmp_lt_i32_e64 s[4:5], -1, v8
	s_and_b64 s[44:45], vcc, s[4:5]
	s_and_saveexec_b64 s[4:5], s[44:45]
	s_cbranch_execz .LBB5_13
; %bb.39:                               ;   in Loop: Header=BB5_16 Depth=1
	v_lshlrev_b64 v[12:13], 3, v[8:9]
	v_add_co_u32_e32 v12, vcc, v17, v12
	v_addc_co_u32_e32 v13, vcc, v18, v13, vcc
	flat_load_dwordx2 v[21:22], v[2:3]
	flat_load_dwordx2 v[23:24], v[12:13]
	s_waitcnt vmcnt(0) lgkmcnt(0)
	v_mul_f32_e32 v8, v24, v22
	v_mul_f32_e32 v12, v24, v21
	v_fmac_f32_e32 v8, v23, v21
	v_fma_f32 v12, v23, v22, -v12
	v_add_f32_e32 v10, v10, v8
	v_add_f32_e32 v11, v11, v12
	s_branch .LBB5_13
.LBB5_40:
	s_or_b64 exec, exec, s[36:37]
.LBB5_41:
	s_or_b64 exec, exec, s[24:25]
	v_lshlrev_b32_e32 v0, 3, v14
	ds_write_b64 v0, v[10:11]
	s_waitcnt lgkmcnt(0)
	s_barrier
.LBB5_42:
	v_cmp_gt_u32_e32 vcc, 64, v14
	s_and_saveexec_b64 s[0:1], vcc
	s_cbranch_execz .LBB5_54
; %bb.43:
	s_lshl_b64 s[0:1], s[14:15], 3
	s_waitcnt lgkmcnt(0)
	s_add_u32 s4, s12, s0
	v_lshl_or_b32 v4, s6, 6, v14
	s_addc_u32 s5, s13, s1
	s_mov_b64 s[2:3], -1
	s_and_b64 vcc, exec, s[20:21]
	v_cmp_gt_i32_e64 s[0:1], s9, v4
	s_cbranch_vccz .LBB5_49
; %bb.44:
	s_and_saveexec_b64 s[2:3], s[0:1]
	s_cbranch_execz .LBB5_48
; %bb.45:
	v_ashrrev_i32_e32 v0, 31, v4
	v_mul_lo_u32 v5, s19, v4
	v_mul_lo_u32 v0, s18, v0
	v_mad_u64_u32 v[2:3], s[0:1], s18, v4, 0
	v_cmp_neq_f32_e64 s[0:1], s16, 0
	v_cmp_neq_f32_e64 s[12:13], s17, 0
	v_add3_u32 v3, v3, v0, v5
	s_or_b64 s[0:1], s[0:1], s[12:13]
	v_lshlrev_b64 v[2:3], 3, v[2:3]
	v_mov_b32_e32 v1, 0
	s_andn2_b64 vcc, exec, s[0:1]
	v_mov_b32_e32 v0, 0
	s_cbranch_vccnz .LBB5_47
; %bb.46:
	v_mov_b32_e32 v1, s5
	v_add_co_u32_e32 v0, vcc, s4, v2
	v_addc_co_u32_e32 v1, vcc, v1, v3, vcc
	flat_load_dwordx2 v[5:6], v[0:1]
	s_waitcnt vmcnt(0) lgkmcnt(0)
	v_mul_f32_e32 v0, s17, v6
	v_mul_f32_e32 v1, s16, v6
	v_fma_f32 v0, s16, v5, -v0
	v_fmac_f32_e32 v1, s17, v5
.LBB5_47:
	v_mov_b32_e32 v5, s5
	v_add_co_u32_e32 v2, vcc, s4, v2
	v_addc_co_u32_e32 v3, vcc, v5, v3, vcc
	flat_store_dwordx2 v[2:3], v[0:1]
.LBB5_48:
	s_or_b64 exec, exec, s[2:3]
	s_mov_b64 s[2:3], 0
.LBB5_49:
	s_andn2_b64 vcc, exec, s[2:3]
	s_cbranch_vccnz .LBB5_54
; %bb.50:
	v_lshlrev_b32_e32 v13, 3, v14
	ds_read2st64_b64 v[0:3], v13 offset1:1
	ds_read2st64_b64 v[5:8], v13 offset0:2 offset1:3
	ds_read2st64_b64 v[9:12], v13 offset0:4 offset1:5
	v_cmp_gt_i32_e32 vcc, s9, v4
	s_waitcnt lgkmcnt(0)
	v_add_f32_e32 v0, v0, v2
	v_add_f32_e32 v1, v1, v3
	;; [unrolled: 1-line block ×6, first 2 shown]
	ds_read2st64_b64 v[0:3], v13 offset0:6 offset1:7
	v_add_f32_e32 v5, v5, v9
	v_add_f32_e32 v6, v6, v10
	;; [unrolled: 1-line block ×4, first 2 shown]
	s_waitcnt lgkmcnt(0)
	v_add_f32_e32 v0, v5, v0
	ds_read2st64_b64 v[5:8], v13 offset0:8 offset1:9
	v_add_f32_e32 v1, v9, v1
	v_add_f32_e32 v9, v0, v2
	;; [unrolled: 1-line block ×3, first 2 shown]
	ds_read2st64_b64 v[0:3], v13 offset0:10 offset1:11
	s_waitcnt lgkmcnt(0)
	v_add_f32_e32 v5, v9, v5
	v_add_f32_e32 v6, v10, v6
	v_add_f32_e32 v5, v5, v7
	v_add_f32_e32 v9, v6, v8
	v_add_f32_e32 v0, v5, v0
	ds_read2st64_b64 v[5:8], v13 offset0:12 offset1:13
	v_add_f32_e32 v1, v9, v1
	v_add_f32_e32 v9, v0, v2
	;; [unrolled: 1-line block ×3, first 2 shown]
	ds_read2st64_b64 v[0:3], v13 offset0:14 offset1:15
	s_waitcnt lgkmcnt(0)
	v_add_f32_e32 v5, v9, v5
	v_add_f32_e32 v6, v10, v6
	;; [unrolled: 1-line block ×8, first 2 shown]
	ds_write_b64 v13, v[2:3]
	s_and_b64 exec, exec, vcc
	s_cbranch_execz .LBB5_54
; %bb.51:
	v_ashrrev_i32_e32 v0, 31, v4
	v_mul_lo_u32 v6, s19, v4
	v_mul_lo_u32 v7, s18, v0
	v_mad_u64_u32 v[4:5], s[8:9], s18, v4, 0
	v_cmp_neq_f32_e64 s[0:1], s16, 0
	v_cmp_neq_f32_e64 s[2:3], s17, 0
	v_add3_u32 v5, v5, v7, v6
	v_mul_f32_e32 v0, s7, v3
	v_mul_f32_e32 v1, s11, v3
	s_or_b64 s[0:1], s[0:1], s[2:3]
	v_lshlrev_b64 v[3:4], 3, v[4:5]
	v_fma_f32 v0, v2, s11, -v0
	s_andn2_b64 vcc, exec, s[0:1]
	v_fmac_f32_e32 v1, s7, v2
	s_cbranch_vccnz .LBB5_53
; %bb.52:
	v_mov_b32_e32 v2, s5
	v_add_co_u32_e32 v5, vcc, s4, v3
	v_addc_co_u32_e32 v6, vcc, v2, v4, vcc
	flat_load_dwordx2 v[5:6], v[5:6]
	s_waitcnt vmcnt(0) lgkmcnt(0)
	v_mul_f32_e32 v2, s17, v6
	v_mul_f32_e32 v6, s16, v6
	v_fma_f32 v2, s16, v5, -v2
	v_fmac_f32_e32 v6, s17, v5
	v_add_f32_e32 v0, v0, v2
	v_add_f32_e32 v1, v1, v6
.LBB5_53:
	v_mov_b32_e32 v5, s5
	v_add_co_u32_e32 v2, vcc, s4, v3
	v_addc_co_u32_e32 v3, vcc, v5, v4, vcc
	flat_store_dwordx2 v[2:3], v[0:1]
.LBB5_54:
	s_endpgm
	.section	.rodata,"a",@progbits
	.p2align	6, 0x0
	.amdhsa_kernel _ZL20rocblas_hbmvn_kernelILi64ELi16E19rocblas_complex_numIfEPKPKS1_PKPS1_EvbiiT1_T2_lllSA_lllS9_T3_llli
		.amdhsa_group_segment_fixed_size 8192
		.amdhsa_private_segment_fixed_size 0
		.amdhsa_kernarg_size 392
		.amdhsa_user_sgpr_count 6
		.amdhsa_user_sgpr_private_segment_buffer 1
		.amdhsa_user_sgpr_dispatch_ptr 0
		.amdhsa_user_sgpr_queue_ptr 0
		.amdhsa_user_sgpr_kernarg_segment_ptr 1
		.amdhsa_user_sgpr_dispatch_id 0
		.amdhsa_user_sgpr_flat_scratch_init 0
		.amdhsa_user_sgpr_private_segment_size 0
		.amdhsa_uses_dynamic_stack 0
		.amdhsa_system_sgpr_private_segment_wavefront_offset 0
		.amdhsa_system_sgpr_workgroup_id_x 1
		.amdhsa_system_sgpr_workgroup_id_y 0
		.amdhsa_system_sgpr_workgroup_id_z 1
		.amdhsa_system_sgpr_workgroup_info 0
		.amdhsa_system_vgpr_workitem_id 1
		.amdhsa_next_free_vgpr 29
		.amdhsa_next_free_sgpr 61
		.amdhsa_reserve_vcc 1
		.amdhsa_reserve_flat_scratch 0
		.amdhsa_float_round_mode_32 0
		.amdhsa_float_round_mode_16_64 0
		.amdhsa_float_denorm_mode_32 3
		.amdhsa_float_denorm_mode_16_64 3
		.amdhsa_dx10_clamp 1
		.amdhsa_ieee_mode 1
		.amdhsa_fp16_overflow 0
		.amdhsa_exception_fp_ieee_invalid_op 0
		.amdhsa_exception_fp_denorm_src 0
		.amdhsa_exception_fp_ieee_div_zero 0
		.amdhsa_exception_fp_ieee_overflow 0
		.amdhsa_exception_fp_ieee_underflow 0
		.amdhsa_exception_fp_ieee_inexact 0
		.amdhsa_exception_int_div_zero 0
	.end_amdhsa_kernel
	.section	.text._ZL20rocblas_hbmvn_kernelILi64ELi16E19rocblas_complex_numIfEPKPKS1_PKPS1_EvbiiT1_T2_lllSA_lllS9_T3_llli,"axG",@progbits,_ZL20rocblas_hbmvn_kernelILi64ELi16E19rocblas_complex_numIfEPKPKS1_PKPS1_EvbiiT1_T2_lllSA_lllS9_T3_llli,comdat
.Lfunc_end5:
	.size	_ZL20rocblas_hbmvn_kernelILi64ELi16E19rocblas_complex_numIfEPKPKS1_PKPS1_EvbiiT1_T2_lllSA_lllS9_T3_llli, .Lfunc_end5-_ZL20rocblas_hbmvn_kernelILi64ELi16E19rocblas_complex_numIfEPKPKS1_PKPS1_EvbiiT1_T2_lllSA_lllS9_T3_llli
                                        ; -- End function
	.set _ZL20rocblas_hbmvn_kernelILi64ELi16E19rocblas_complex_numIfEPKPKS1_PKPS1_EvbiiT1_T2_lllSA_lllS9_T3_llli.num_vgpr, 25
	.set _ZL20rocblas_hbmvn_kernelILi64ELi16E19rocblas_complex_numIfEPKPKS1_PKPS1_EvbiiT1_T2_lllSA_lllS9_T3_llli.num_agpr, 0
	.set _ZL20rocblas_hbmvn_kernelILi64ELi16E19rocblas_complex_numIfEPKPKS1_PKPS1_EvbiiT1_T2_lllSA_lllS9_T3_llli.numbered_sgpr, 50
	.set _ZL20rocblas_hbmvn_kernelILi64ELi16E19rocblas_complex_numIfEPKPKS1_PKPS1_EvbiiT1_T2_lllSA_lllS9_T3_llli.num_named_barrier, 0
	.set _ZL20rocblas_hbmvn_kernelILi64ELi16E19rocblas_complex_numIfEPKPKS1_PKPS1_EvbiiT1_T2_lllSA_lllS9_T3_llli.private_seg_size, 0
	.set _ZL20rocblas_hbmvn_kernelILi64ELi16E19rocblas_complex_numIfEPKPKS1_PKPS1_EvbiiT1_T2_lllSA_lllS9_T3_llli.uses_vcc, 1
	.set _ZL20rocblas_hbmvn_kernelILi64ELi16E19rocblas_complex_numIfEPKPKS1_PKPS1_EvbiiT1_T2_lllSA_lllS9_T3_llli.uses_flat_scratch, 0
	.set _ZL20rocblas_hbmvn_kernelILi64ELi16E19rocblas_complex_numIfEPKPKS1_PKPS1_EvbiiT1_T2_lllSA_lllS9_T3_llli.has_dyn_sized_stack, 0
	.set _ZL20rocblas_hbmvn_kernelILi64ELi16E19rocblas_complex_numIfEPKPKS1_PKPS1_EvbiiT1_T2_lllSA_lllS9_T3_llli.has_recursion, 0
	.set _ZL20rocblas_hbmvn_kernelILi64ELi16E19rocblas_complex_numIfEPKPKS1_PKPS1_EvbiiT1_T2_lllSA_lllS9_T3_llli.has_indirect_call, 0
	.section	.AMDGPU.csdata,"",@progbits
; Kernel info:
; codeLenInByte = 2044
; TotalNumSgprs: 54
; NumVgprs: 25
; ScratchSize: 0
; MemoryBound: 0
; FloatMode: 240
; IeeeMode: 1
; LDSByteSize: 8192 bytes/workgroup (compile time only)
; SGPRBlocks: 8
; VGPRBlocks: 7
; NumSGPRsForWavesPerEU: 65
; NumVGPRsForWavesPerEU: 29
; Occupancy: 8
; WaveLimiterHint : 1
; COMPUTE_PGM_RSRC2:SCRATCH_EN: 0
; COMPUTE_PGM_RSRC2:USER_SGPR: 6
; COMPUTE_PGM_RSRC2:TRAP_HANDLER: 0
; COMPUTE_PGM_RSRC2:TGID_X_EN: 1
; COMPUTE_PGM_RSRC2:TGID_Y_EN: 0
; COMPUTE_PGM_RSRC2:TGID_Z_EN: 1
; COMPUTE_PGM_RSRC2:TIDIG_COMP_CNT: 1
	.section	.text._ZL20rocblas_hbmvn_kernelILi64ELi16EPK19rocblas_complex_numIdEPKS3_PKPS1_EvbiiT1_T2_lllSA_lllS9_T3_llli,"axG",@progbits,_ZL20rocblas_hbmvn_kernelILi64ELi16EPK19rocblas_complex_numIdEPKS3_PKPS1_EvbiiT1_T2_lllSA_lllS9_T3_llli,comdat
	.globl	_ZL20rocblas_hbmvn_kernelILi64ELi16EPK19rocblas_complex_numIdEPKS3_PKPS1_EvbiiT1_T2_lllSA_lllS9_T3_llli ; -- Begin function _ZL20rocblas_hbmvn_kernelILi64ELi16EPK19rocblas_complex_numIdEPKS3_PKPS1_EvbiiT1_T2_lllSA_lllS9_T3_llli
	.p2align	8
	.type	_ZL20rocblas_hbmvn_kernelILi64ELi16EPK19rocblas_complex_numIdEPKS3_PKPS1_EvbiiT1_T2_lllSA_lllS9_T3_llli,@function
_ZL20rocblas_hbmvn_kernelILi64ELi16EPK19rocblas_complex_numIdEPKS3_PKPS1_EvbiiT1_T2_lllSA_lllS9_T3_llli: ; @_ZL20rocblas_hbmvn_kernelILi64ELi16EPK19rocblas_complex_numIdEPKS3_PKPS1_EvbiiT1_T2_lllSA_lllS9_T3_llli
; %bb.0:
	s_load_dwordx2 s[2:3], s[4:5], 0x94
	s_mov_b32 s0, s7
	s_waitcnt lgkmcnt(0)
	s_and_b32 s1, s3, 0xffff
	s_lshr_b32 s3, s2, 16
	s_and_b32 s7, s2, 0xffff
	s_mul_i32 s2, s3, s7
	s_mul_i32 s2, s2, s1
	s_cmpk_lg_i32 s2, 0x400
	s_cbranch_scc1 .LBB6_56
; %bb.1:
	s_load_dwordx8 s[16:23], s[4:5], 0x10
	s_load_dwordx8 s[8:15], s[4:5], 0x58
	s_mov_b32 s1, 0
	s_mov_b64 s[34:35], 0
	s_mov_b64 s[2:3], s[0:1]
	s_waitcnt lgkmcnt(0)
	s_load_dwordx4 s[28:31], s[16:17], 0x0
	s_load_dwordx4 s[24:27], s[8:9], 0x0
	s_mov_b64 s[16:17], -1
	s_waitcnt lgkmcnt(0)
	v_cmp_neq_f64_e64 s[36:37], s[28:29], 0
	v_cmp_neq_f64_e64 s[38:39], s[30:31], 0
	s_or_b64 s[8:9], s[36:37], s[38:39]
	s_and_b64 vcc, exec, s[8:9]
	s_mov_b64 s[36:37], 0
	s_cbranch_vccnz .LBB6_4
; %bb.2:
	v_cmp_eq_f64_e64 s[2:3], s[24:25], 1.0
	v_cmp_eq_f64_e64 s[36:37], s[26:27], 0
	s_mov_b64 s[16:17], 0
	s_and_b64 s[2:3], s[2:3], s[36:37]
	s_andn2_b64 vcc, exec, s[2:3]
	s_mov_b64 s[36:37], 0
                                        ; implicit-def: $sgpr2_sgpr3
	s_cbranch_vccz .LBB6_4
; %bb.3:
	s_mov_b32 s3, 0
	s_mov_b32 s2, s0
	s_mov_b64 s[36:37], -1
.LBB6_4:
	s_and_b64 vcc, exec, s[16:17]
	s_cbranch_vccz .LBB6_6
; %bb.5:
	s_lshl_b64 s[0:1], s[0:1], 3
	s_add_u32 s0, s18, s0
	s_addc_u32 s1, s19, s1
	s_load_dwordx2 s[0:1], s[0:1], 0x0
	s_lshl_b64 s[16:17], s[20:21], 4
	s_mov_b64 s[36:37], -1
	s_waitcnt lgkmcnt(0)
	s_add_u32 s34, s0, s16
	s_addc_u32 s35, s1, s17
.LBB6_6:
	s_andn2_b64 vcc, exec, s[36:37]
	s_cbranch_vccnz .LBB6_56
; %bb.7:
	s_load_dwordx4 s[16:19], s[4:5], 0x38
	s_load_dwordx2 s[40:41], s[4:5], 0x48
	v_cndmask_b32_e64 v2, 0, 1, s[8:9]
	v_cmp_ne_u32_e64 s[0:1], 1, v2
	s_andn2_b64 vcc, exec, s[8:9]
	s_mov_b64 s[42:43], 0
	s_cbranch_vccnz .LBB6_9
; %bb.8:
	s_lshl_b64 s[20:21], s[2:3], 3
	s_waitcnt lgkmcnt(0)
	s_add_u32 s16, s16, s20
	s_addc_u32 s17, s17, s21
	s_load_dwordx2 s[16:17], s[16:17], 0x0
	s_lshl_b64 s[18:19], s[18:19], 4
	s_waitcnt lgkmcnt(0)
	s_add_u32 s42, s16, s18
	s_addc_u32 s43, s17, s19
.LBB6_9:
	s_lshl_b64 s[2:3], s[2:3], 3
	s_add_u32 s2, s10, s2
	s_addc_u32 s3, s11, s3
	s_waitcnt lgkmcnt(0)
	s_load_dwordx4 s[16:19], s[4:5], 0x0
	s_load_dwordx2 s[10:11], s[2:3], 0x0
	s_and_b64 vcc, exec, s[0:1]
	v_mad_u32_u24 v20, v1, s7, v0
	s_cbranch_vccnz .LBB6_41
; %bb.10:
	v_lshrrev_b32_e32 v21, 6, v20
	v_mov_b32_e32 v2, 0
	v_mov_b32_e32 v0, 0
	;; [unrolled: 1-line block ×4, first 2 shown]
	s_waitcnt lgkmcnt(0)
	v_cmp_gt_i32_e32 vcc, s17, v21
	s_and_saveexec_b64 s[20:21], vcc
	s_cbranch_execz .LBB6_40
; %bb.11:
	s_lshl_b32 s7, s6, 6
	s_bitcmp1_b32 s16, 0
	s_cselect_b64 s[0:1], -1, 0
	s_and_b64 s[2:3], s[0:1], exec
	v_and_b32_e32 v11, 63, v20
	s_cselect_b32 s16, s18, 0
	s_xor_b64 s[36:37], s[0:1], -1
	v_or_b32_e32 v4, s7, v11
	s_cmp_eq_u32 s18, 0
	s_cselect_b64 s[4:5], -1, 0
	v_ashrrev_i32_e32 v5, 31, v4
	v_mad_u64_u32 v[0:1], s[38:39], s22, v4, 0
	v_mul_lo_u32 v6, s22, v5
	v_mul_lo_u32 v7, s23, v4
	s_or_b64 s[38:39], s[36:37], s[4:5]
	v_mad_u64_u32 v[2:3], s[4:5], s40, v21, 0
	v_add3_u32 v1, v1, v6, v7
	v_lshlrev_b64 v[0:1], 4, v[0:1]
	v_mad_u64_u32 v[6:7], s[4:5], s41, v21, v[3:4]
	v_mov_b32_e32 v22, s35
	v_add_co_u32_e32 v23, vcc, s34, v0
	v_mov_b32_e32 v3, v6
	v_addc_co_u32_e32 v24, vcc, v22, v1, vcc
	v_lshlrev_b64 v[0:1], 4, v[2:3]
	v_mad_u64_u32 v[2:3], s[4:5], s22, v21, 0
	v_mov_b32_e32 v7, s43
	v_add_co_u32_e32 v6, vcc, s42, v0
	v_mov_b32_e32 v0, v3
	v_addc_co_u32_e32 v7, vcc, v7, v1, vcc
	v_mad_u64_u32 v[0:1], s[4:5], s23, v21, v[0:1]
	s_lshl_b64 s[40:41], s[40:41], 8
	v_sub_u32_e32 v10, s16, v11
	s_lshl_b64 s[42:43], s[22:23], 8
	s_add_i32 s16, s18, s7
	s_lshl_b64 s[4:5], s[22:23], 4
	v_lshlrev_b64 v[8:9], 4, v[4:5]
	s_add_u32 s4, s4, -16
	v_mad_u64_u32 v[8:9], s[22:23], v21, s4, v[8:9]
	v_mov_b32_e32 v3, v0
	s_addc_u32 s4, s5, -1
	v_mov_b32_e32 v0, v9
	v_mad_u64_u32 v[0:1], s[4:5], v21, s4, v[0:1]
	v_add_u32_e32 v1, s16, v11
	v_sub_u32_e32 v12, v4, v21
	v_subrev_u32_e32 v5, s7, v10
	v_lshlrev_b64 v[9:10], 4, v[2:3]
	v_sub_u32_e32 v11, v1, v21
	v_mov_b32_e32 v25, v0
	s_add_u32 s7, s42, 0xffffff00
	v_mov_b32_e32 v2, 0
	v_mov_b32_e32 v0, 0
	v_cmp_gt_i32_e64 s[2:3], s17, v4
	s_addc_u32 s16, s43, -1
	v_mov_b32_e32 v13, 0
	v_mov_b32_e32 v3, 0
	s_mov_b64 s[22:23], 0
	v_cndmask_b32_e64 v26, v12, v11, s[0:1]
	v_mov_b32_e32 v1, 0
	s_mov_b64 s[44:45], 0
	s_branch .LBB6_15
.LBB6_12:                               ;   in Loop: Header=BB6_15 Depth=1
	s_or_b64 exec, exec, s[4:5]
.LBB6_13:                               ;   in Loop: Header=BB6_15 Depth=1
	s_or_b64 exec, exec, s[48:49]
.LBB6_14:                               ;   in Loop: Header=BB6_15 Depth=1
	s_or_b64 exec, exec, s[46:47]
	v_mov_b32_e32 v12, s41
	v_add_co_u32_e32 v6, vcc, s40, v6
	v_addc_co_u32_e32 v7, vcc, v7, v12, vcc
	v_mov_b32_e32 v12, s43
	v_add_co_u32_e32 v9, vcc, s42, v9
	v_add_u32_e32 v21, 16, v21
	v_addc_co_u32_e32 v10, vcc, v10, v12, vcc
	s_add_u32 s44, s44, -16
	s_addc_u32 s45, s45, -1
	v_cmp_le_i32_e32 vcc, s17, v21
	v_mov_b32_e32 v12, s16
	s_or_b64 s[22:23], vcc, s[22:23]
	v_add_co_u32_e32 v8, vcc, s7, v8
	v_add_u32_e32 v11, -16, v11
	v_addc_co_u32_e32 v25, vcc, v25, v12, vcc
	s_andn2_b64 exec, exec, s[22:23]
	s_cbranch_execz .LBB6_39
.LBB6_15:                               ; =>This Inner Loop Header: Depth=1
	s_and_saveexec_b64 s[46:47], s[2:3]
	s_cbranch_execz .LBB6_14
; %bb.16:                               ;   in Loop: Header=BB6_15 Depth=1
	v_cmp_gt_i32_e32 vcc, v4, v21
	v_cndmask_b32_e64 v12, 0, 1, vcc
	v_cmp_lt_i32_e32 vcc, v4, v21
	v_cndmask_b32_e64 v14, 0, 1, vcc
	v_cndmask_b32_e64 v12, v14, v12, s[0:1]
	v_and_b32_e32 v12, 1, v12
	v_cmp_eq_u32_e32 vcc, 1, v12
	s_xor_b64 s[4:5], vcc, -1
	s_and_saveexec_b64 s[48:49], s[4:5]
	s_xor_b64 s[48:49], exec, s[48:49]
	s_cbranch_execz .LBB6_36
; %bb.17:                               ;   in Loop: Header=BB6_15 Depth=1
	v_add_u32_e32 v12, s44, v26
	v_cmp_le_i32_e32 vcc, s18, v12
	v_cmp_gt_i32_e64 s[4:5], 1, v12
	s_or_b64 s[4:5], vcc, s[4:5]
	s_and_saveexec_b64 s[50:51], s[4:5]
	s_xor_b64 s[4:5], exec, s[50:51]
	s_cbranch_execz .LBB6_33
; %bb.18:                               ;   in Loop: Header=BB6_15 Depth=1
	v_cmp_ne_u32_e32 vcc, 0, v12
	s_and_saveexec_b64 s[50:51], vcc
	s_xor_b64 s[50:51], exec, s[50:51]
	s_cbranch_execz .LBB6_26
; %bb.19:                               ;   in Loop: Header=BB6_15 Depth=1
	v_cmp_eq_u32_e32 vcc, s18, v12
	s_and_saveexec_b64 s[52:53], vcc
	s_cbranch_execz .LBB6_25
; %bb.20:                               ;   in Loop: Header=BB6_15 Depth=1
	s_mov_b64 s[54:55], -1
	s_and_b64 vcc, exec, s[36:37]
                                        ; implicit-def: $vgpr16_vgpr17
                                        ; implicit-def: $vgpr14_vgpr15
	s_cbranch_vccz .LBB6_22
; %bb.21:                               ;   in Loop: Header=BB6_15 Depth=1
	v_add_co_u32_e32 v18, vcc, s34, v8
	v_addc_co_u32_e32 v19, vcc, v22, v25, vcc
	flat_load_dwordx4 v[14:17], v[6:7]
	flat_load_dwordx4 v[27:30], v[18:19]
	s_mov_b64 s[54:55], 0
	s_waitcnt vmcnt(0) lgkmcnt(0)
	v_mul_f64 v[18:19], v[16:17], v[29:30]
	v_mul_f64 v[29:30], v[14:15], v[29:30]
	v_fma_f64 v[14:15], v[14:15], v[27:28], -v[18:19]
	v_fma_f64 v[16:17], v[16:17], v[27:28], v[29:30]
	v_add_f64 v[14:15], v[0:1], v[14:15]
	v_add_f64 v[16:17], v[2:3], v[16:17]
.LBB6_22:                               ;   in Loop: Header=BB6_15 Depth=1
	s_andn2_b64 vcc, exec, s[54:55]
	s_cbranch_vccnz .LBB6_24
; %bb.23:                               ;   in Loop: Header=BB6_15 Depth=1
	v_ashrrev_i32_e32 v12, 31, v11
	v_lshlrev_b64 v[14:15], 4, v[11:12]
	v_add_co_u32_e32 v12, vcc, v9, v14
	v_addc_co_u32_e32 v14, vcc, v10, v15, vcc
	v_mov_b32_e32 v15, s35
	v_add_co_u32_e32 v18, vcc, s34, v12
	v_addc_co_u32_e32 v19, vcc, v15, v14, vcc
	flat_load_dwordx4 v[14:17], v[6:7]
	s_nop 0
	flat_load_dwordx2 v[18:19], v[18:19]
	s_waitcnt vmcnt(0) lgkmcnt(0)
	v_fma_f64 v[14:15], v[18:19], v[14:15], v[0:1]
	v_fma_f64 v[16:17], v[18:19], v[16:17], v[2:3]
.LBB6_24:                               ;   in Loop: Header=BB6_15 Depth=1
	v_mov_b32_e32 v2, v16
	v_mov_b32_e32 v0, v14
	;; [unrolled: 1-line block ×4, first 2 shown]
.LBB6_25:                               ;   in Loop: Header=BB6_15 Depth=1
	s_or_b64 exec, exec, s[52:53]
.LBB6_26:                               ;   in Loop: Header=BB6_15 Depth=1
	s_andn2_saveexec_b64 s[50:51], s[50:51]
	s_cbranch_execz .LBB6_32
; %bb.27:                               ;   in Loop: Header=BB6_15 Depth=1
	v_mov_b32_e32 v12, s35
	v_add_co_u32_e32 v14, vcc, s34, v9
	v_addc_co_u32_e32 v15, vcc, v12, v10, vcc
	s_andn2_b64 vcc, exec, s[38:39]
	s_mov_b64 s[52:53], -1
                                        ; implicit-def: $vgpr18_vgpr19
                                        ; implicit-def: $vgpr16_vgpr17
	s_cbranch_vccnz .LBB6_29
; %bb.28:                               ;   in Loop: Header=BB6_15 Depth=1
	flat_load_dwordx2 v[27:28], v[14:15]
	flat_load_dwordx4 v[16:19], v[6:7]
	s_mov_b64 s[52:53], 0
	s_waitcnt vmcnt(0) lgkmcnt(0)
	v_fma_f64 v[16:17], v[27:28], v[16:17], v[0:1]
	v_fma_f64 v[18:19], v[27:28], v[18:19], v[2:3]
.LBB6_29:                               ;   in Loop: Header=BB6_15 Depth=1
	s_andn2_b64 vcc, exec, s[52:53]
	s_cbranch_vccnz .LBB6_31
; %bb.30:                               ;   in Loop: Header=BB6_15 Depth=1
	flat_load_dwordx4 v[16:19], v[6:7]
	flat_load_dwordx4 v[27:30], v[14:15]
	s_waitcnt vmcnt(0) lgkmcnt(0)
	v_mul_f64 v[14:15], v[18:19], v[29:30]
	v_mul_f64 v[29:30], v[16:17], v[29:30]
	v_fma_f64 v[14:15], v[16:17], v[27:28], -v[14:15]
	v_fma_f64 v[18:19], v[18:19], v[27:28], v[29:30]
	v_add_f64 v[16:17], v[0:1], v[14:15]
	v_add_f64 v[18:19], v[2:3], v[18:19]
.LBB6_31:                               ;   in Loop: Header=BB6_15 Depth=1
	v_mov_b32_e32 v2, v18
	v_mov_b32_e32 v0, v16
	;; [unrolled: 1-line block ×4, first 2 shown]
.LBB6_32:                               ;   in Loop: Header=BB6_15 Depth=1
	s_or_b64 exec, exec, s[50:51]
.LBB6_33:                               ;   in Loop: Header=BB6_15 Depth=1
	s_andn2_saveexec_b64 s[4:5], s[4:5]
	s_cbranch_execz .LBB6_35
; %bb.34:                               ;   in Loop: Header=BB6_15 Depth=1
	v_lshlrev_b64 v[14:15], 4, v[12:13]
	v_add_co_u32_e32 v12, vcc, v9, v14
	v_addc_co_u32_e32 v14, vcc, v10, v15, vcc
	v_mov_b32_e32 v15, s35
	v_add_co_u32_e32 v18, vcc, s34, v12
	v_addc_co_u32_e32 v19, vcc, v15, v14, vcc
	flat_load_dwordx4 v[14:17], v[6:7]
	flat_load_dwordx4 v[27:30], v[18:19]
	s_waitcnt vmcnt(0) lgkmcnt(0)
	v_mul_f64 v[18:19], v[16:17], v[29:30]
	v_mul_f64 v[29:30], v[14:15], v[29:30]
	v_fma_f64 v[14:15], v[14:15], v[27:28], -v[18:19]
	v_fma_f64 v[16:17], v[16:17], v[27:28], v[29:30]
	v_add_f64 v[0:1], v[0:1], v[14:15]
	v_add_f64 v[2:3], v[2:3], v[16:17]
.LBB6_35:                               ;   in Loop: Header=BB6_15 Depth=1
	s_or_b64 exec, exec, s[4:5]
.LBB6_36:                               ;   in Loop: Header=BB6_15 Depth=1
	s_andn2_saveexec_b64 s[48:49], s[48:49]
	s_cbranch_execz .LBB6_13
; %bb.37:                               ;   in Loop: Header=BB6_15 Depth=1
	v_add_u32_e32 v12, v5, v21
	v_cmp_ge_i32_e32 vcc, s18, v12
	v_cmp_lt_i32_e64 s[4:5], -1, v12
	s_and_b64 s[50:51], vcc, s[4:5]
	s_and_saveexec_b64 s[4:5], s[50:51]
	s_cbranch_execz .LBB6_12
; %bb.38:                               ;   in Loop: Header=BB6_15 Depth=1
	v_lshlrev_b64 v[14:15], 4, v[12:13]
	v_add_co_u32_e32 v18, vcc, v23, v14
	v_addc_co_u32_e32 v19, vcc, v24, v15, vcc
	flat_load_dwordx4 v[14:17], v[6:7]
	flat_load_dwordx4 v[27:30], v[18:19]
	s_waitcnt vmcnt(0) lgkmcnt(0)
	v_mul_f64 v[18:19], v[29:30], v[16:17]
	v_mul_f64 v[29:30], v[29:30], v[14:15]
	v_fma_f64 v[14:15], v[27:28], v[14:15], v[18:19]
	v_fma_f64 v[16:17], v[27:28], v[16:17], -v[29:30]
	v_add_f64 v[0:1], v[0:1], v[14:15]
	v_add_f64 v[2:3], v[2:3], v[16:17]
	s_branch .LBB6_12
.LBB6_39:
	s_or_b64 exec, exec, s[22:23]
.LBB6_40:
	s_or_b64 exec, exec, s[20:21]
	v_lshlrev_b32_e32 v4, 4, v20
	ds_write_b128 v4, v[0:3]
	s_waitcnt lgkmcnt(0)
	s_barrier
.LBB6_41:
	v_cmp_gt_u32_e32 vcc, 64, v20
	s_and_saveexec_b64 s[0:1], vcc
	s_cbranch_execz .LBB6_56
; %bb.42:
	s_xor_b64 s[0:1], s[8:9], -1
	s_lshl_b64 s[2:3], s[12:13], 4
	s_waitcnt lgkmcnt(0)
	s_add_u32 s7, s10, s2
	v_lshl_or_b32 v10, s6, 6, v20
	s_addc_u32 s8, s11, s3
	s_and_b64 vcc, exec, s[0:1]
	v_cmp_gt_i32_e64 s[0:1], s17, v10
	s_cbranch_vccz .LBB6_48
; %bb.43:
	s_mov_b64 s[4:5], 0
	s_mov_b64 s[2:3], 0
                                        ; implicit-def: $vgpr2_vgpr3
                                        ; implicit-def: $vgpr8_vgpr9
	s_and_saveexec_b64 s[10:11], s[0:1]
	s_xor_b64 s[0:1], exec, s[10:11]
	s_cbranch_execz .LBB6_47
; %bb.44:
	v_cmp_neq_f64_e64 s[2:3], s[24:25], 0
	v_cmp_neq_f64_e64 s[10:11], s[26:27], 0
	v_ashrrev_i32_e32 v0, 31, v10
	v_mul_lo_u32 v4, s15, v10
	v_mad_u64_u32 v[8:9], s[12:13], s14, v10, 0
	v_mul_lo_u32 v5, s14, v0
	v_mov_b32_e32 v2, 0
	v_mov_b32_e32 v0, 0
	s_or_b64 s[2:3], s[2:3], s[10:11]
	v_mov_b32_e32 v3, 0
	s_andn2_b64 vcc, exec, s[2:3]
	v_mov_b32_e32 v1, 0
	v_add3_u32 v9, v9, v5, v4
	s_cbranch_vccnz .LBB6_46
; %bb.45:
	v_lshlrev_b64 v[0:1], 4, v[8:9]
	v_mov_b32_e32 v2, s8
	v_add_co_u32_e32 v0, vcc, s7, v0
	v_addc_co_u32_e32 v1, vcc, v2, v1, vcc
	flat_load_dwordx4 v[2:5], v[0:1]
	s_waitcnt vmcnt(0) lgkmcnt(0)
	v_mul_f64 v[0:1], s[26:27], v[4:5]
	v_mul_f64 v[4:5], s[24:25], v[4:5]
	v_fma_f64 v[0:1], s[24:25], v[2:3], -v[0:1]
	v_fma_f64 v[2:3], s[26:27], v[2:3], v[4:5]
.LBB6_46:
	s_mov_b64 s[2:3], exec
.LBB6_47:
	s_or_b64 exec, exec, s[0:1]
	s_and_b64 vcc, exec, s[4:5]
	s_cbranch_vccnz .LBB6_49
	s_branch .LBB6_54
.LBB6_48:
	s_mov_b64 s[2:3], 0
                                        ; implicit-def: $vgpr2_vgpr3
                                        ; implicit-def: $vgpr8_vgpr9
	s_cbranch_execz .LBB6_54
.LBB6_49:
	v_lshlrev_b32_e32 v0, 4, v20
	ds_read_b128 v[1:4], v0
	ds_read_b128 v[5:8], v0 offset:1024
	v_cmp_gt_i32_e32 vcc, s17, v10
	s_waitcnt lgkmcnt(0)
	v_add_f64 v[11:12], v[1:2], v[5:6]
	v_add_f64 v[13:14], v[3:4], v[7:8]
	ds_read_b128 v[1:4], v0 offset:2048
	ds_read_b128 v[5:8], v0 offset:3072
	s_waitcnt lgkmcnt(1)
	v_add_f64 v[1:2], v[11:12], v[1:2]
	v_add_f64 v[3:4], v[13:14], v[3:4]
	s_waitcnt lgkmcnt(0)
	v_add_f64 v[11:12], v[1:2], v[5:6]
	v_add_f64 v[13:14], v[3:4], v[7:8]
	ds_read_b128 v[1:4], v0 offset:4096
	ds_read_b128 v[5:8], v0 offset:5120
	s_waitcnt lgkmcnt(1)
	v_add_f64 v[1:2], v[11:12], v[1:2]
	v_add_f64 v[3:4], v[13:14], v[3:4]
	s_waitcnt lgkmcnt(0)
	v_add_f64 v[11:12], v[1:2], v[5:6]
	v_add_f64 v[13:14], v[3:4], v[7:8]
	ds_read_b128 v[1:4], v0 offset:6144
	ds_read_b128 v[5:8], v0 offset:7168
	s_waitcnt lgkmcnt(1)
	v_add_f64 v[1:2], v[11:12], v[1:2]
	v_add_f64 v[3:4], v[13:14], v[3:4]
	s_waitcnt lgkmcnt(0)
	v_add_f64 v[11:12], v[1:2], v[5:6]
	v_add_f64 v[13:14], v[3:4], v[7:8]
	ds_read_b128 v[1:4], v0 offset:8192
	ds_read_b128 v[5:8], v0 offset:9216
	s_waitcnt lgkmcnt(1)
	v_add_f64 v[1:2], v[11:12], v[1:2]
	v_add_f64 v[3:4], v[13:14], v[3:4]
	s_waitcnt lgkmcnt(0)
	v_add_f64 v[11:12], v[1:2], v[5:6]
	v_add_f64 v[13:14], v[3:4], v[7:8]
	ds_read_b128 v[1:4], v0 offset:10240
	ds_read_b128 v[5:8], v0 offset:11264
	s_waitcnt lgkmcnt(1)
	v_add_f64 v[1:2], v[11:12], v[1:2]
	v_add_f64 v[3:4], v[13:14], v[3:4]
	s_waitcnt lgkmcnt(0)
	v_add_f64 v[11:12], v[1:2], v[5:6]
	v_add_f64 v[13:14], v[3:4], v[7:8]
	ds_read_b128 v[1:4], v0 offset:12288
	ds_read_b128 v[5:8], v0 offset:13312
	s_waitcnt lgkmcnt(1)
	v_add_f64 v[1:2], v[11:12], v[1:2]
	v_add_f64 v[3:4], v[13:14], v[3:4]
	s_waitcnt lgkmcnt(0)
	v_add_f64 v[11:12], v[1:2], v[5:6]
	v_add_f64 v[13:14], v[3:4], v[7:8]
	ds_read_b128 v[1:4], v0 offset:14336
	ds_read_b128 v[5:8], v0 offset:15360
	s_waitcnt lgkmcnt(1)
	v_add_f64 v[1:2], v[11:12], v[1:2]
	v_add_f64 v[11:12], v[13:14], v[3:4]
	s_waitcnt lgkmcnt(0)
	v_add_f64 v[4:5], v[1:2], v[5:6]
	v_add_f64 v[6:7], v[11:12], v[7:8]
                                        ; implicit-def: $vgpr8_vgpr9
	ds_write_b128 v0, v[4:7]
                                        ; implicit-def: $vgpr2_vgpr3
	s_and_saveexec_b64 s[0:1], vcc
	s_cbranch_execz .LBB6_53
; %bb.50:
	v_mul_f64 v[0:1], s[30:31], v[6:7]
	v_mul_f64 v[2:3], s[28:29], v[6:7]
	v_cmp_neq_f64_e64 s[4:5], s[24:25], 0
	v_cmp_neq_f64_e64 s[10:11], s[26:27], 0
	v_ashrrev_i32_e32 v6, 31, v10
	v_mul_lo_u32 v7, s15, v10
	v_mad_u64_u32 v[8:9], s[12:13], s14, v10, 0
	v_fma_f64 v[0:1], s[28:29], v[4:5], -v[0:1]
	v_fma_f64 v[2:3], s[30:31], v[4:5], v[2:3]
	v_mul_lo_u32 v4, s14, v6
	s_or_b64 s[4:5], s[4:5], s[10:11]
	s_andn2_b64 vcc, exec, s[4:5]
	v_add3_u32 v9, v9, v4, v7
	s_cbranch_vccnz .LBB6_52
; %bb.51:
	v_lshlrev_b64 v[4:5], 4, v[8:9]
	v_mov_b32_e32 v6, s8
	v_add_co_u32_e32 v4, vcc, s7, v4
	v_addc_co_u32_e32 v5, vcc, v6, v5, vcc
	flat_load_dwordx4 v[4:7], v[4:5]
	s_waitcnt vmcnt(0) lgkmcnt(0)
	v_mul_f64 v[10:11], s[26:27], v[6:7]
	v_mul_f64 v[6:7], s[24:25], v[6:7]
	v_fma_f64 v[10:11], s[24:25], v[4:5], -v[10:11]
	v_fma_f64 v[4:5], s[26:27], v[4:5], v[6:7]
	v_add_f64 v[0:1], v[0:1], v[10:11]
	v_add_f64 v[2:3], v[2:3], v[4:5]
.LBB6_52:
	s_or_b64 s[2:3], s[2:3], exec
.LBB6_53:
	s_or_b64 exec, exec, s[0:1]
.LBB6_54:
	s_and_b64 exec, exec, s[2:3]
	s_cbranch_execz .LBB6_56
; %bb.55:
	v_lshlrev_b64 v[4:5], 4, v[8:9]
	v_mov_b32_e32 v6, s8
	v_add_co_u32_e32 v4, vcc, s7, v4
	v_addc_co_u32_e32 v5, vcc, v6, v5, vcc
	flat_store_dwordx4 v[4:5], v[0:3]
.LBB6_56:
	s_endpgm
	.section	.rodata,"a",@progbits
	.p2align	6, 0x0
	.amdhsa_kernel _ZL20rocblas_hbmvn_kernelILi64ELi16EPK19rocblas_complex_numIdEPKS3_PKPS1_EvbiiT1_T2_lllSA_lllS9_T3_llli
		.amdhsa_group_segment_fixed_size 16384
		.amdhsa_private_segment_fixed_size 0
		.amdhsa_kernarg_size 392
		.amdhsa_user_sgpr_count 6
		.amdhsa_user_sgpr_private_segment_buffer 1
		.amdhsa_user_sgpr_dispatch_ptr 0
		.amdhsa_user_sgpr_queue_ptr 0
		.amdhsa_user_sgpr_kernarg_segment_ptr 1
		.amdhsa_user_sgpr_dispatch_id 0
		.amdhsa_user_sgpr_flat_scratch_init 0
		.amdhsa_user_sgpr_private_segment_size 0
		.amdhsa_uses_dynamic_stack 0
		.amdhsa_system_sgpr_private_segment_wavefront_offset 0
		.amdhsa_system_sgpr_workgroup_id_x 1
		.amdhsa_system_sgpr_workgroup_id_y 0
		.amdhsa_system_sgpr_workgroup_id_z 1
		.amdhsa_system_sgpr_workgroup_info 0
		.amdhsa_system_vgpr_workitem_id 1
		.amdhsa_next_free_vgpr 31
		.amdhsa_next_free_sgpr 61
		.amdhsa_reserve_vcc 1
		.amdhsa_reserve_flat_scratch 0
		.amdhsa_float_round_mode_32 0
		.amdhsa_float_round_mode_16_64 0
		.amdhsa_float_denorm_mode_32 3
		.amdhsa_float_denorm_mode_16_64 3
		.amdhsa_dx10_clamp 1
		.amdhsa_ieee_mode 1
		.amdhsa_fp16_overflow 0
		.amdhsa_exception_fp_ieee_invalid_op 0
		.amdhsa_exception_fp_denorm_src 0
		.amdhsa_exception_fp_ieee_div_zero 0
		.amdhsa_exception_fp_ieee_overflow 0
		.amdhsa_exception_fp_ieee_underflow 0
		.amdhsa_exception_fp_ieee_inexact 0
		.amdhsa_exception_int_div_zero 0
	.end_amdhsa_kernel
	.section	.text._ZL20rocblas_hbmvn_kernelILi64ELi16EPK19rocblas_complex_numIdEPKS3_PKPS1_EvbiiT1_T2_lllSA_lllS9_T3_llli,"axG",@progbits,_ZL20rocblas_hbmvn_kernelILi64ELi16EPK19rocblas_complex_numIdEPKS3_PKPS1_EvbiiT1_T2_lllSA_lllS9_T3_llli,comdat
.Lfunc_end6:
	.size	_ZL20rocblas_hbmvn_kernelILi64ELi16EPK19rocblas_complex_numIdEPKS3_PKPS1_EvbiiT1_T2_lllSA_lllS9_T3_llli, .Lfunc_end6-_ZL20rocblas_hbmvn_kernelILi64ELi16EPK19rocblas_complex_numIdEPKS3_PKPS1_EvbiiT1_T2_lllSA_lllS9_T3_llli
                                        ; -- End function
	.set _ZL20rocblas_hbmvn_kernelILi64ELi16EPK19rocblas_complex_numIdEPKS3_PKPS1_EvbiiT1_T2_lllSA_lllS9_T3_llli.num_vgpr, 31
	.set _ZL20rocblas_hbmvn_kernelILi64ELi16EPK19rocblas_complex_numIdEPKS3_PKPS1_EvbiiT1_T2_lllSA_lllS9_T3_llli.num_agpr, 0
	.set _ZL20rocblas_hbmvn_kernelILi64ELi16EPK19rocblas_complex_numIdEPKS3_PKPS1_EvbiiT1_T2_lllSA_lllS9_T3_llli.numbered_sgpr, 56
	.set _ZL20rocblas_hbmvn_kernelILi64ELi16EPK19rocblas_complex_numIdEPKS3_PKPS1_EvbiiT1_T2_lllSA_lllS9_T3_llli.num_named_barrier, 0
	.set _ZL20rocblas_hbmvn_kernelILi64ELi16EPK19rocblas_complex_numIdEPKS3_PKPS1_EvbiiT1_T2_lllSA_lllS9_T3_llli.private_seg_size, 0
	.set _ZL20rocblas_hbmvn_kernelILi64ELi16EPK19rocblas_complex_numIdEPKS3_PKPS1_EvbiiT1_T2_lllSA_lllS9_T3_llli.uses_vcc, 1
	.set _ZL20rocblas_hbmvn_kernelILi64ELi16EPK19rocblas_complex_numIdEPKS3_PKPS1_EvbiiT1_T2_lllSA_lllS9_T3_llli.uses_flat_scratch, 0
	.set _ZL20rocblas_hbmvn_kernelILi64ELi16EPK19rocblas_complex_numIdEPKS3_PKPS1_EvbiiT1_T2_lllSA_lllS9_T3_llli.has_dyn_sized_stack, 0
	.set _ZL20rocblas_hbmvn_kernelILi64ELi16EPK19rocblas_complex_numIdEPKS3_PKPS1_EvbiiT1_T2_lllSA_lllS9_T3_llli.has_recursion, 0
	.set _ZL20rocblas_hbmvn_kernelILi64ELi16EPK19rocblas_complex_numIdEPKS3_PKPS1_EvbiiT1_T2_lllSA_lllS9_T3_llli.has_indirect_call, 0
	.section	.AMDGPU.csdata,"",@progbits
; Kernel info:
; codeLenInByte = 2468
; TotalNumSgprs: 60
; NumVgprs: 31
; ScratchSize: 0
; MemoryBound: 1
; FloatMode: 240
; IeeeMode: 1
; LDSByteSize: 16384 bytes/workgroup (compile time only)
; SGPRBlocks: 8
; VGPRBlocks: 7
; NumSGPRsForWavesPerEU: 65
; NumVGPRsForWavesPerEU: 31
; Occupancy: 8
; WaveLimiterHint : 1
; COMPUTE_PGM_RSRC2:SCRATCH_EN: 0
; COMPUTE_PGM_RSRC2:USER_SGPR: 6
; COMPUTE_PGM_RSRC2:TRAP_HANDLER: 0
; COMPUTE_PGM_RSRC2:TGID_X_EN: 1
; COMPUTE_PGM_RSRC2:TGID_Y_EN: 0
; COMPUTE_PGM_RSRC2:TGID_Z_EN: 1
; COMPUTE_PGM_RSRC2:TIDIG_COMP_CNT: 1
	.section	.text._ZL20rocblas_hbmvn_kernelILi64ELi16E19rocblas_complex_numIdEPKPKS1_PKPS1_EvbiiT1_T2_lllSA_lllS9_T3_llli,"axG",@progbits,_ZL20rocblas_hbmvn_kernelILi64ELi16E19rocblas_complex_numIdEPKPKS1_PKPS1_EvbiiT1_T2_lllSA_lllS9_T3_llli,comdat
	.globl	_ZL20rocblas_hbmvn_kernelILi64ELi16E19rocblas_complex_numIdEPKPKS1_PKPS1_EvbiiT1_T2_lllSA_lllS9_T3_llli ; -- Begin function _ZL20rocblas_hbmvn_kernelILi64ELi16E19rocblas_complex_numIdEPKPKS1_PKPS1_EvbiiT1_T2_lllSA_lllS9_T3_llli
	.p2align	8
	.type	_ZL20rocblas_hbmvn_kernelILi64ELi16E19rocblas_complex_numIdEPKPKS1_PKPS1_EvbiiT1_T2_lllSA_lllS9_T3_llli,@function
_ZL20rocblas_hbmvn_kernelILi64ELi16E19rocblas_complex_numIdEPKPKS1_PKPS1_EvbiiT1_T2_lllSA_lllS9_T3_llli: ; @_ZL20rocblas_hbmvn_kernelILi64ELi16E19rocblas_complex_numIdEPKPKS1_PKPS1_EvbiiT1_T2_lllSA_lllS9_T3_llli
; %bb.0:
	s_load_dwordx2 s[2:3], s[4:5], 0xa4
	s_mov_b32 s0, s7
	s_waitcnt lgkmcnt(0)
	s_and_b32 s1, s3, 0xffff
	s_lshr_b32 s3, s2, 16
	s_and_b32 s7, s2, 0xffff
	s_mul_i32 s2, s3, s7
	s_mul_i32 s2, s2, s1
	s_cmpk_lg_i32 s2, 0x400
	s_cbranch_scc1 .LBB7_56
; %bb.1:
	s_load_dwordx8 s[16:23], s[4:5], 0x10
	s_load_dwordx2 s[42:43], s[4:5], 0x30
	s_load_dwordx8 s[8:15], s[4:5], 0x60
	s_mov_b32 s1, 0
	s_mov_b64 s[28:29], 0
	s_mov_b64 s[24:25], -1
	s_waitcnt lgkmcnt(0)
	v_cmp_neq_f64_e64 s[26:27], s[16:17], 0
	v_cmp_neq_f64_e64 s[30:31], s[18:19], 0
	s_mov_b64 s[2:3], s[0:1]
	s_or_b64 s[26:27], s[26:27], s[30:31]
	s_and_b64 vcc, exec, s[26:27]
	s_mov_b64 s[30:31], 0
	s_cbranch_vccnz .LBB7_4
; %bb.2:
	v_cmp_eq_f64_e64 s[2:3], s[8:9], 1.0
	v_cmp_eq_f64_e64 s[30:31], s[10:11], 0
	s_mov_b64 s[24:25], 0
	s_and_b64 s[2:3], s[2:3], s[30:31]
	s_andn2_b64 vcc, exec, s[2:3]
	s_mov_b64 s[30:31], 0
                                        ; implicit-def: $sgpr2_sgpr3
	s_cbranch_vccz .LBB7_4
; %bb.3:
	s_mov_b32 s3, 0
	s_mov_b32 s2, s0
	s_mov_b64 s[30:31], -1
.LBB7_4:
	s_and_b64 vcc, exec, s[24:25]
	s_cbranch_vccz .LBB7_6
; %bb.5:
	s_lshl_b64 s[0:1], s[0:1], 3
	s_add_u32 s0, s20, s0
	s_addc_u32 s1, s21, s1
	s_load_dwordx2 s[0:1], s[0:1], 0x0
	s_lshl_b64 s[20:21], s[22:23], 4
	s_mov_b64 s[30:31], -1
	s_waitcnt lgkmcnt(0)
	s_add_u32 s28, s0, s20
	s_addc_u32 s29, s1, s21
.LBB7_6:
	s_andn2_b64 vcc, exec, s[30:31]
	s_cbranch_vccnz .LBB7_56
; %bb.7:
	s_load_dwordx2 s[24:25], s[4:5], 0x80
	s_load_dwordx4 s[20:23], s[4:5], 0x40
	s_load_dwordx2 s[38:39], s[4:5], 0x50
	v_cndmask_b32_e64 v2, 0, 1, s[26:27]
	v_cmp_ne_u32_e64 s[0:1], 1, v2
	s_andn2_b64 vcc, exec, s[26:27]
	s_mov_b64 s[40:41], 0
	s_cbranch_vccnz .LBB7_9
; %bb.8:
	s_lshl_b64 s[30:31], s[2:3], 3
	s_waitcnt lgkmcnt(0)
	s_add_u32 s20, s20, s30
	s_addc_u32 s21, s21, s31
	s_load_dwordx2 s[20:21], s[20:21], 0x0
	s_lshl_b64 s[22:23], s[22:23], 4
	s_waitcnt lgkmcnt(0)
	s_add_u32 s40, s20, s22
	s_addc_u32 s41, s21, s23
.LBB7_9:
	s_lshl_b64 s[2:3], s[2:3], 3
	s_add_u32 s2, s12, s2
	s_addc_u32 s3, s13, s3
	s_waitcnt lgkmcnt(0)
	s_load_dwordx4 s[20:23], s[4:5], 0x0
	s_load_dwordx2 s[12:13], s[2:3], 0x0
	s_and_b64 vcc, exec, s[0:1]
	v_mad_u32_u24 v20, v1, s7, v0
	s_cbranch_vccnz .LBB7_41
; %bb.10:
	v_lshrrev_b32_e32 v21, 6, v20
	v_mov_b32_e32 v2, 0
	v_mov_b32_e32 v0, 0
	;; [unrolled: 1-line block ×4, first 2 shown]
	s_waitcnt lgkmcnt(0)
	v_cmp_gt_i32_e32 vcc, s21, v21
	s_and_saveexec_b64 s[30:31], vcc
	s_cbranch_execz .LBB7_40
; %bb.11:
	s_lshl_b32 s7, s6, 6
	s_bitcmp1_b32 s20, 0
	s_cselect_b64 s[0:1], -1, 0
	s_and_b64 s[2:3], s[0:1], exec
	v_and_b32_e32 v11, 63, v20
	s_cselect_b32 s20, s22, 0
	s_xor_b64 s[34:35], s[0:1], -1
	v_or_b32_e32 v4, s7, v11
	s_cmp_eq_u32 s22, 0
	s_cselect_b64 s[4:5], -1, 0
	v_ashrrev_i32_e32 v5, 31, v4
	v_mad_u64_u32 v[0:1], s[36:37], s42, v4, 0
	v_mul_lo_u32 v6, s42, v5
	v_mul_lo_u32 v7, s43, v4
	s_or_b64 s[36:37], s[34:35], s[4:5]
	v_mad_u64_u32 v[2:3], s[4:5], s38, v21, 0
	v_add3_u32 v1, v1, v6, v7
	v_lshlrev_b64 v[0:1], 4, v[0:1]
	v_mad_u64_u32 v[6:7], s[4:5], s39, v21, v[3:4]
	v_mov_b32_e32 v22, s29
	v_add_co_u32_e32 v23, vcc, s28, v0
	v_mov_b32_e32 v3, v6
	v_addc_co_u32_e32 v24, vcc, v22, v1, vcc
	v_lshlrev_b64 v[0:1], 4, v[2:3]
	v_mad_u64_u32 v[2:3], s[4:5], s42, v21, 0
	v_mov_b32_e32 v7, s41
	v_add_co_u32_e32 v6, vcc, s40, v0
	v_mov_b32_e32 v0, v3
	v_addc_co_u32_e32 v7, vcc, v7, v1, vcc
	v_mad_u64_u32 v[0:1], s[4:5], s43, v21, v[0:1]
	s_lshl_b64 s[38:39], s[38:39], 8
	v_sub_u32_e32 v10, s20, v11
	s_lshl_b64 s[40:41], s[42:43], 8
	s_add_i32 s20, s22, s7
	s_lshl_b64 s[4:5], s[42:43], 4
	v_lshlrev_b64 v[8:9], 4, v[4:5]
	s_add_u32 s4, s4, -16
	v_mad_u64_u32 v[8:9], s[42:43], v21, s4, v[8:9]
	v_mov_b32_e32 v3, v0
	s_addc_u32 s4, s5, -1
	v_mov_b32_e32 v0, v9
	v_mad_u64_u32 v[0:1], s[4:5], v21, s4, v[0:1]
	v_add_u32_e32 v1, s20, v11
	v_sub_u32_e32 v12, v4, v21
	v_subrev_u32_e32 v5, s7, v10
	v_lshlrev_b64 v[9:10], 4, v[2:3]
	v_sub_u32_e32 v11, v1, v21
	v_mov_b32_e32 v25, v0
	s_add_u32 s7, s40, 0xffffff00
	v_mov_b32_e32 v2, 0
	v_mov_b32_e32 v0, 0
	v_cmp_gt_i32_e64 s[2:3], s21, v4
	s_addc_u32 s20, s41, -1
	v_mov_b32_e32 v13, 0
	v_mov_b32_e32 v3, 0
	s_mov_b64 s[42:43], 0
	v_cndmask_b32_e64 v26, v12, v11, s[0:1]
	v_mov_b32_e32 v1, 0
	s_mov_b64 s[44:45], 0
	s_branch .LBB7_15
.LBB7_12:                               ;   in Loop: Header=BB7_15 Depth=1
	s_or_b64 exec, exec, s[4:5]
.LBB7_13:                               ;   in Loop: Header=BB7_15 Depth=1
	s_or_b64 exec, exec, s[48:49]
.LBB7_14:                               ;   in Loop: Header=BB7_15 Depth=1
	s_or_b64 exec, exec, s[46:47]
	v_mov_b32_e32 v12, s39
	v_add_co_u32_e32 v6, vcc, s38, v6
	v_addc_co_u32_e32 v7, vcc, v7, v12, vcc
	v_mov_b32_e32 v12, s41
	v_add_co_u32_e32 v9, vcc, s40, v9
	v_add_u32_e32 v21, 16, v21
	v_addc_co_u32_e32 v10, vcc, v10, v12, vcc
	s_add_u32 s44, s44, -16
	s_addc_u32 s45, s45, -1
	v_cmp_le_i32_e32 vcc, s21, v21
	v_mov_b32_e32 v12, s20
	s_or_b64 s[42:43], vcc, s[42:43]
	v_add_co_u32_e32 v8, vcc, s7, v8
	v_add_u32_e32 v11, -16, v11
	v_addc_co_u32_e32 v25, vcc, v25, v12, vcc
	s_andn2_b64 exec, exec, s[42:43]
	s_cbranch_execz .LBB7_39
.LBB7_15:                               ; =>This Inner Loop Header: Depth=1
	s_and_saveexec_b64 s[46:47], s[2:3]
	s_cbranch_execz .LBB7_14
; %bb.16:                               ;   in Loop: Header=BB7_15 Depth=1
	v_cmp_gt_i32_e32 vcc, v4, v21
	v_cndmask_b32_e64 v12, 0, 1, vcc
	v_cmp_lt_i32_e32 vcc, v4, v21
	v_cndmask_b32_e64 v14, 0, 1, vcc
	v_cndmask_b32_e64 v12, v14, v12, s[0:1]
	v_and_b32_e32 v12, 1, v12
	v_cmp_eq_u32_e32 vcc, 1, v12
	s_xor_b64 s[4:5], vcc, -1
	s_and_saveexec_b64 s[48:49], s[4:5]
	s_xor_b64 s[48:49], exec, s[48:49]
	s_cbranch_execz .LBB7_36
; %bb.17:                               ;   in Loop: Header=BB7_15 Depth=1
	v_add_u32_e32 v12, s44, v26
	v_cmp_le_i32_e32 vcc, s22, v12
	v_cmp_gt_i32_e64 s[4:5], 1, v12
	s_or_b64 s[4:5], vcc, s[4:5]
	s_and_saveexec_b64 s[50:51], s[4:5]
	s_xor_b64 s[4:5], exec, s[50:51]
	s_cbranch_execz .LBB7_33
; %bb.18:                               ;   in Loop: Header=BB7_15 Depth=1
	v_cmp_ne_u32_e32 vcc, 0, v12
	s_and_saveexec_b64 s[50:51], vcc
	s_xor_b64 s[50:51], exec, s[50:51]
	s_cbranch_execz .LBB7_26
; %bb.19:                               ;   in Loop: Header=BB7_15 Depth=1
	v_cmp_eq_u32_e32 vcc, s22, v12
	s_and_saveexec_b64 s[52:53], vcc
	s_cbranch_execz .LBB7_25
; %bb.20:                               ;   in Loop: Header=BB7_15 Depth=1
	s_mov_b64 s[54:55], -1
	s_and_b64 vcc, exec, s[34:35]
                                        ; implicit-def: $vgpr16_vgpr17
                                        ; implicit-def: $vgpr14_vgpr15
	s_cbranch_vccz .LBB7_22
; %bb.21:                               ;   in Loop: Header=BB7_15 Depth=1
	v_add_co_u32_e32 v18, vcc, s28, v8
	v_addc_co_u32_e32 v19, vcc, v22, v25, vcc
	flat_load_dwordx4 v[14:17], v[6:7]
	flat_load_dwordx4 v[27:30], v[18:19]
	s_mov_b64 s[54:55], 0
	s_waitcnt vmcnt(0) lgkmcnt(0)
	v_mul_f64 v[18:19], v[16:17], v[29:30]
	v_mul_f64 v[29:30], v[14:15], v[29:30]
	v_fma_f64 v[14:15], v[14:15], v[27:28], -v[18:19]
	v_fma_f64 v[16:17], v[16:17], v[27:28], v[29:30]
	v_add_f64 v[14:15], v[0:1], v[14:15]
	v_add_f64 v[16:17], v[2:3], v[16:17]
.LBB7_22:                               ;   in Loop: Header=BB7_15 Depth=1
	s_andn2_b64 vcc, exec, s[54:55]
	s_cbranch_vccnz .LBB7_24
; %bb.23:                               ;   in Loop: Header=BB7_15 Depth=1
	v_ashrrev_i32_e32 v12, 31, v11
	v_lshlrev_b64 v[14:15], 4, v[11:12]
	v_add_co_u32_e32 v12, vcc, v9, v14
	v_addc_co_u32_e32 v14, vcc, v10, v15, vcc
	v_mov_b32_e32 v15, s29
	v_add_co_u32_e32 v18, vcc, s28, v12
	v_addc_co_u32_e32 v19, vcc, v15, v14, vcc
	flat_load_dwordx4 v[14:17], v[6:7]
	s_nop 0
	flat_load_dwordx2 v[18:19], v[18:19]
	s_waitcnt vmcnt(0) lgkmcnt(0)
	v_fma_f64 v[14:15], v[18:19], v[14:15], v[0:1]
	v_fma_f64 v[16:17], v[18:19], v[16:17], v[2:3]
.LBB7_24:                               ;   in Loop: Header=BB7_15 Depth=1
	v_mov_b32_e32 v2, v16
	v_mov_b32_e32 v0, v14
	;; [unrolled: 1-line block ×4, first 2 shown]
.LBB7_25:                               ;   in Loop: Header=BB7_15 Depth=1
	s_or_b64 exec, exec, s[52:53]
.LBB7_26:                               ;   in Loop: Header=BB7_15 Depth=1
	s_andn2_saveexec_b64 s[50:51], s[50:51]
	s_cbranch_execz .LBB7_32
; %bb.27:                               ;   in Loop: Header=BB7_15 Depth=1
	v_mov_b32_e32 v12, s29
	v_add_co_u32_e32 v14, vcc, s28, v9
	v_addc_co_u32_e32 v15, vcc, v12, v10, vcc
	s_andn2_b64 vcc, exec, s[36:37]
	s_mov_b64 s[52:53], -1
                                        ; implicit-def: $vgpr18_vgpr19
                                        ; implicit-def: $vgpr16_vgpr17
	s_cbranch_vccnz .LBB7_29
; %bb.28:                               ;   in Loop: Header=BB7_15 Depth=1
	flat_load_dwordx2 v[27:28], v[14:15]
	flat_load_dwordx4 v[16:19], v[6:7]
	s_mov_b64 s[52:53], 0
	s_waitcnt vmcnt(0) lgkmcnt(0)
	v_fma_f64 v[16:17], v[27:28], v[16:17], v[0:1]
	v_fma_f64 v[18:19], v[27:28], v[18:19], v[2:3]
.LBB7_29:                               ;   in Loop: Header=BB7_15 Depth=1
	s_andn2_b64 vcc, exec, s[52:53]
	s_cbranch_vccnz .LBB7_31
; %bb.30:                               ;   in Loop: Header=BB7_15 Depth=1
	flat_load_dwordx4 v[16:19], v[6:7]
	flat_load_dwordx4 v[27:30], v[14:15]
	s_waitcnt vmcnt(0) lgkmcnt(0)
	v_mul_f64 v[14:15], v[18:19], v[29:30]
	v_mul_f64 v[29:30], v[16:17], v[29:30]
	v_fma_f64 v[14:15], v[16:17], v[27:28], -v[14:15]
	v_fma_f64 v[18:19], v[18:19], v[27:28], v[29:30]
	v_add_f64 v[16:17], v[0:1], v[14:15]
	v_add_f64 v[18:19], v[2:3], v[18:19]
.LBB7_31:                               ;   in Loop: Header=BB7_15 Depth=1
	v_mov_b32_e32 v2, v18
	v_mov_b32_e32 v0, v16
	v_mov_b32_e32 v3, v19
	v_mov_b32_e32 v1, v17
.LBB7_32:                               ;   in Loop: Header=BB7_15 Depth=1
	s_or_b64 exec, exec, s[50:51]
.LBB7_33:                               ;   in Loop: Header=BB7_15 Depth=1
	s_andn2_saveexec_b64 s[4:5], s[4:5]
	s_cbranch_execz .LBB7_35
; %bb.34:                               ;   in Loop: Header=BB7_15 Depth=1
	v_lshlrev_b64 v[14:15], 4, v[12:13]
	v_add_co_u32_e32 v12, vcc, v9, v14
	v_addc_co_u32_e32 v14, vcc, v10, v15, vcc
	v_mov_b32_e32 v15, s29
	v_add_co_u32_e32 v18, vcc, s28, v12
	v_addc_co_u32_e32 v19, vcc, v15, v14, vcc
	flat_load_dwordx4 v[14:17], v[6:7]
	flat_load_dwordx4 v[27:30], v[18:19]
	s_waitcnt vmcnt(0) lgkmcnt(0)
	v_mul_f64 v[18:19], v[16:17], v[29:30]
	v_mul_f64 v[29:30], v[14:15], v[29:30]
	v_fma_f64 v[14:15], v[14:15], v[27:28], -v[18:19]
	v_fma_f64 v[16:17], v[16:17], v[27:28], v[29:30]
	v_add_f64 v[0:1], v[0:1], v[14:15]
	v_add_f64 v[2:3], v[2:3], v[16:17]
.LBB7_35:                               ;   in Loop: Header=BB7_15 Depth=1
	s_or_b64 exec, exec, s[4:5]
.LBB7_36:                               ;   in Loop: Header=BB7_15 Depth=1
	s_andn2_saveexec_b64 s[48:49], s[48:49]
	s_cbranch_execz .LBB7_13
; %bb.37:                               ;   in Loop: Header=BB7_15 Depth=1
	v_add_u32_e32 v12, v5, v21
	v_cmp_ge_i32_e32 vcc, s22, v12
	v_cmp_lt_i32_e64 s[4:5], -1, v12
	s_and_b64 s[50:51], vcc, s[4:5]
	s_and_saveexec_b64 s[4:5], s[50:51]
	s_cbranch_execz .LBB7_12
; %bb.38:                               ;   in Loop: Header=BB7_15 Depth=1
	v_lshlrev_b64 v[14:15], 4, v[12:13]
	v_add_co_u32_e32 v18, vcc, v23, v14
	v_addc_co_u32_e32 v19, vcc, v24, v15, vcc
	flat_load_dwordx4 v[14:17], v[6:7]
	flat_load_dwordx4 v[27:30], v[18:19]
	s_waitcnt vmcnt(0) lgkmcnt(0)
	v_mul_f64 v[18:19], v[29:30], v[16:17]
	v_mul_f64 v[29:30], v[29:30], v[14:15]
	v_fma_f64 v[14:15], v[27:28], v[14:15], v[18:19]
	v_fma_f64 v[16:17], v[27:28], v[16:17], -v[29:30]
	v_add_f64 v[0:1], v[0:1], v[14:15]
	v_add_f64 v[2:3], v[2:3], v[16:17]
	s_branch .LBB7_12
.LBB7_39:
	s_or_b64 exec, exec, s[42:43]
.LBB7_40:
	s_or_b64 exec, exec, s[30:31]
	v_lshlrev_b32_e32 v4, 4, v20
	ds_write_b128 v4, v[0:3]
	s_waitcnt lgkmcnt(0)
	s_barrier
.LBB7_41:
	v_cmp_gt_u32_e32 vcc, 64, v20
	s_and_saveexec_b64 s[0:1], vcc
	s_cbranch_execz .LBB7_56
; %bb.42:
	s_xor_b64 s[0:1], s[26:27], -1
	s_lshl_b64 s[2:3], s[14:15], 4
	s_waitcnt lgkmcnt(0)
	s_add_u32 s7, s12, s2
	v_lshl_or_b32 v10, s6, 6, v20
	s_addc_u32 s12, s13, s3
	s_and_b64 vcc, exec, s[0:1]
	v_cmp_gt_i32_e64 s[0:1], s21, v10
	s_cbranch_vccz .LBB7_48
; %bb.43:
	s_mov_b64 s[4:5], 0
	s_mov_b64 s[2:3], 0
                                        ; implicit-def: $vgpr2_vgpr3
                                        ; implicit-def: $vgpr8_vgpr9
	s_and_saveexec_b64 s[14:15], s[0:1]
	s_xor_b64 s[0:1], exec, s[14:15]
	s_cbranch_execz .LBB7_47
; %bb.44:
	v_cmp_neq_f64_e64 s[2:3], s[8:9], 0
	v_cmp_neq_f64_e64 s[14:15], s[10:11], 0
	v_ashrrev_i32_e32 v0, 31, v10
	v_mul_lo_u32 v4, s25, v10
	v_mad_u64_u32 v[8:9], s[22:23], s24, v10, 0
	v_mul_lo_u32 v5, s24, v0
	v_mov_b32_e32 v2, 0
	v_mov_b32_e32 v0, 0
	s_or_b64 s[2:3], s[2:3], s[14:15]
	v_mov_b32_e32 v3, 0
	s_andn2_b64 vcc, exec, s[2:3]
	v_mov_b32_e32 v1, 0
	v_add3_u32 v9, v9, v5, v4
	s_cbranch_vccnz .LBB7_46
; %bb.45:
	v_lshlrev_b64 v[0:1], 4, v[8:9]
	v_mov_b32_e32 v2, s12
	v_add_co_u32_e32 v0, vcc, s7, v0
	v_addc_co_u32_e32 v1, vcc, v2, v1, vcc
	flat_load_dwordx4 v[2:5], v[0:1]
	s_waitcnt vmcnt(0) lgkmcnt(0)
	v_mul_f64 v[0:1], s[10:11], v[4:5]
	v_mul_f64 v[4:5], s[8:9], v[4:5]
	v_fma_f64 v[0:1], s[8:9], v[2:3], -v[0:1]
	v_fma_f64 v[2:3], s[10:11], v[2:3], v[4:5]
.LBB7_46:
	s_mov_b64 s[2:3], exec
.LBB7_47:
	s_or_b64 exec, exec, s[0:1]
	s_and_b64 vcc, exec, s[4:5]
	s_cbranch_vccnz .LBB7_49
	s_branch .LBB7_54
.LBB7_48:
	s_mov_b64 s[2:3], 0
                                        ; implicit-def: $vgpr2_vgpr3
                                        ; implicit-def: $vgpr8_vgpr9
	s_cbranch_execz .LBB7_54
.LBB7_49:
	v_lshlrev_b32_e32 v0, 4, v20
	ds_read_b128 v[1:4], v0
	ds_read_b128 v[5:8], v0 offset:1024
	v_cmp_gt_i32_e32 vcc, s21, v10
	s_waitcnt lgkmcnt(0)
	v_add_f64 v[11:12], v[1:2], v[5:6]
	v_add_f64 v[13:14], v[3:4], v[7:8]
	ds_read_b128 v[1:4], v0 offset:2048
	ds_read_b128 v[5:8], v0 offset:3072
	s_waitcnt lgkmcnt(1)
	v_add_f64 v[1:2], v[11:12], v[1:2]
	v_add_f64 v[3:4], v[13:14], v[3:4]
	s_waitcnt lgkmcnt(0)
	v_add_f64 v[11:12], v[1:2], v[5:6]
	v_add_f64 v[13:14], v[3:4], v[7:8]
	ds_read_b128 v[1:4], v0 offset:4096
	ds_read_b128 v[5:8], v0 offset:5120
	s_waitcnt lgkmcnt(1)
	v_add_f64 v[1:2], v[11:12], v[1:2]
	v_add_f64 v[3:4], v[13:14], v[3:4]
	;; [unrolled: 8-line block ×7, first 2 shown]
	s_waitcnt lgkmcnt(0)
	v_add_f64 v[4:5], v[1:2], v[5:6]
	v_add_f64 v[6:7], v[11:12], v[7:8]
                                        ; implicit-def: $vgpr8_vgpr9
	ds_write_b128 v0, v[4:7]
                                        ; implicit-def: $vgpr2_vgpr3
	s_and_saveexec_b64 s[0:1], vcc
	s_cbranch_execz .LBB7_53
; %bb.50:
	v_mul_f64 v[0:1], s[18:19], v[6:7]
	v_mul_f64 v[2:3], s[16:17], v[6:7]
	v_cmp_neq_f64_e64 s[4:5], s[8:9], 0
	v_cmp_neq_f64_e64 s[14:15], s[10:11], 0
	v_ashrrev_i32_e32 v6, 31, v10
	v_mul_lo_u32 v7, s25, v10
	v_fma_f64 v[0:1], s[16:17], v[4:5], -v[0:1]
	v_fma_f64 v[2:3], s[18:19], v[4:5], v[2:3]
	v_mul_lo_u32 v4, s24, v6
	v_mad_u64_u32 v[8:9], s[16:17], s24, v10, 0
	s_or_b64 s[4:5], s[4:5], s[14:15]
	s_andn2_b64 vcc, exec, s[4:5]
	v_add3_u32 v9, v9, v4, v7
	s_cbranch_vccnz .LBB7_52
; %bb.51:
	v_lshlrev_b64 v[4:5], 4, v[8:9]
	v_mov_b32_e32 v6, s12
	v_add_co_u32_e32 v4, vcc, s7, v4
	v_addc_co_u32_e32 v5, vcc, v6, v5, vcc
	flat_load_dwordx4 v[4:7], v[4:5]
	s_waitcnt vmcnt(0) lgkmcnt(0)
	v_mul_f64 v[10:11], s[10:11], v[6:7]
	v_mul_f64 v[6:7], s[8:9], v[6:7]
	v_fma_f64 v[10:11], s[8:9], v[4:5], -v[10:11]
	v_fma_f64 v[4:5], s[10:11], v[4:5], v[6:7]
	v_add_f64 v[0:1], v[0:1], v[10:11]
	v_add_f64 v[2:3], v[2:3], v[4:5]
.LBB7_52:
	s_or_b64 s[2:3], s[2:3], exec
.LBB7_53:
	s_or_b64 exec, exec, s[0:1]
.LBB7_54:
	s_and_b64 exec, exec, s[2:3]
	s_cbranch_execz .LBB7_56
; %bb.55:
	v_lshlrev_b64 v[4:5], 4, v[8:9]
	v_mov_b32_e32 v6, s12
	v_add_co_u32_e32 v4, vcc, s7, v4
	v_addc_co_u32_e32 v5, vcc, v6, v5, vcc
	flat_store_dwordx4 v[4:5], v[0:3]
.LBB7_56:
	s_endpgm
	.section	.rodata,"a",@progbits
	.p2align	6, 0x0
	.amdhsa_kernel _ZL20rocblas_hbmvn_kernelILi64ELi16E19rocblas_complex_numIdEPKPKS1_PKPS1_EvbiiT1_T2_lllSA_lllS9_T3_llli
		.amdhsa_group_segment_fixed_size 16384
		.amdhsa_private_segment_fixed_size 0
		.amdhsa_kernarg_size 408
		.amdhsa_user_sgpr_count 6
		.amdhsa_user_sgpr_private_segment_buffer 1
		.amdhsa_user_sgpr_dispatch_ptr 0
		.amdhsa_user_sgpr_queue_ptr 0
		.amdhsa_user_sgpr_kernarg_segment_ptr 1
		.amdhsa_user_sgpr_dispatch_id 0
		.amdhsa_user_sgpr_flat_scratch_init 0
		.amdhsa_user_sgpr_private_segment_size 0
		.amdhsa_uses_dynamic_stack 0
		.amdhsa_system_sgpr_private_segment_wavefront_offset 0
		.amdhsa_system_sgpr_workgroup_id_x 1
		.amdhsa_system_sgpr_workgroup_id_y 0
		.amdhsa_system_sgpr_workgroup_id_z 1
		.amdhsa_system_sgpr_workgroup_info 0
		.amdhsa_system_vgpr_workitem_id 1
		.amdhsa_next_free_vgpr 31
		.amdhsa_next_free_sgpr 61
		.amdhsa_reserve_vcc 1
		.amdhsa_reserve_flat_scratch 0
		.amdhsa_float_round_mode_32 0
		.amdhsa_float_round_mode_16_64 0
		.amdhsa_float_denorm_mode_32 3
		.amdhsa_float_denorm_mode_16_64 3
		.amdhsa_dx10_clamp 1
		.amdhsa_ieee_mode 1
		.amdhsa_fp16_overflow 0
		.amdhsa_exception_fp_ieee_invalid_op 0
		.amdhsa_exception_fp_denorm_src 0
		.amdhsa_exception_fp_ieee_div_zero 0
		.amdhsa_exception_fp_ieee_overflow 0
		.amdhsa_exception_fp_ieee_underflow 0
		.amdhsa_exception_fp_ieee_inexact 0
		.amdhsa_exception_int_div_zero 0
	.end_amdhsa_kernel
	.section	.text._ZL20rocblas_hbmvn_kernelILi64ELi16E19rocblas_complex_numIdEPKPKS1_PKPS1_EvbiiT1_T2_lllSA_lllS9_T3_llli,"axG",@progbits,_ZL20rocblas_hbmvn_kernelILi64ELi16E19rocblas_complex_numIdEPKPKS1_PKPS1_EvbiiT1_T2_lllSA_lllS9_T3_llli,comdat
.Lfunc_end7:
	.size	_ZL20rocblas_hbmvn_kernelILi64ELi16E19rocblas_complex_numIdEPKPKS1_PKPS1_EvbiiT1_T2_lllSA_lllS9_T3_llli, .Lfunc_end7-_ZL20rocblas_hbmvn_kernelILi64ELi16E19rocblas_complex_numIdEPKPKS1_PKPS1_EvbiiT1_T2_lllSA_lllS9_T3_llli
                                        ; -- End function
	.set _ZL20rocblas_hbmvn_kernelILi64ELi16E19rocblas_complex_numIdEPKPKS1_PKPS1_EvbiiT1_T2_lllSA_lllS9_T3_llli.num_vgpr, 31
	.set _ZL20rocblas_hbmvn_kernelILi64ELi16E19rocblas_complex_numIdEPKPKS1_PKPS1_EvbiiT1_T2_lllSA_lllS9_T3_llli.num_agpr, 0
	.set _ZL20rocblas_hbmvn_kernelILi64ELi16E19rocblas_complex_numIdEPKPKS1_PKPS1_EvbiiT1_T2_lllSA_lllS9_T3_llli.numbered_sgpr, 56
	.set _ZL20rocblas_hbmvn_kernelILi64ELi16E19rocblas_complex_numIdEPKPKS1_PKPS1_EvbiiT1_T2_lllSA_lllS9_T3_llli.num_named_barrier, 0
	.set _ZL20rocblas_hbmvn_kernelILi64ELi16E19rocblas_complex_numIdEPKPKS1_PKPS1_EvbiiT1_T2_lllSA_lllS9_T3_llli.private_seg_size, 0
	.set _ZL20rocblas_hbmvn_kernelILi64ELi16E19rocblas_complex_numIdEPKPKS1_PKPS1_EvbiiT1_T2_lllSA_lllS9_T3_llli.uses_vcc, 1
	.set _ZL20rocblas_hbmvn_kernelILi64ELi16E19rocblas_complex_numIdEPKPKS1_PKPS1_EvbiiT1_T2_lllSA_lllS9_T3_llli.uses_flat_scratch, 0
	.set _ZL20rocblas_hbmvn_kernelILi64ELi16E19rocblas_complex_numIdEPKPKS1_PKPS1_EvbiiT1_T2_lllSA_lllS9_T3_llli.has_dyn_sized_stack, 0
	.set _ZL20rocblas_hbmvn_kernelILi64ELi16E19rocblas_complex_numIdEPKPKS1_PKPS1_EvbiiT1_T2_lllSA_lllS9_T3_llli.has_recursion, 0
	.set _ZL20rocblas_hbmvn_kernelILi64ELi16E19rocblas_complex_numIdEPKPKS1_PKPS1_EvbiiT1_T2_lllSA_lllS9_T3_llli.has_indirect_call, 0
	.section	.AMDGPU.csdata,"",@progbits
; Kernel info:
; codeLenInByte = 2464
; TotalNumSgprs: 60
; NumVgprs: 31
; ScratchSize: 0
; MemoryBound: 1
; FloatMode: 240
; IeeeMode: 1
; LDSByteSize: 16384 bytes/workgroup (compile time only)
; SGPRBlocks: 8
; VGPRBlocks: 7
; NumSGPRsForWavesPerEU: 65
; NumVGPRsForWavesPerEU: 31
; Occupancy: 8
; WaveLimiterHint : 1
; COMPUTE_PGM_RSRC2:SCRATCH_EN: 0
; COMPUTE_PGM_RSRC2:USER_SGPR: 6
; COMPUTE_PGM_RSRC2:TRAP_HANDLER: 0
; COMPUTE_PGM_RSRC2:TGID_X_EN: 1
; COMPUTE_PGM_RSRC2:TGID_Y_EN: 0
; COMPUTE_PGM_RSRC2:TGID_Z_EN: 1
; COMPUTE_PGM_RSRC2:TIDIG_COMP_CNT: 1
	.section	.AMDGPU.gpr_maximums,"",@progbits
	.set amdgpu.max_num_vgpr, 0
	.set amdgpu.max_num_agpr, 0
	.set amdgpu.max_num_sgpr, 0
	.section	.AMDGPU.csdata,"",@progbits
	.type	__hip_cuid_28717c972fe84cf7,@object ; @__hip_cuid_28717c972fe84cf7
	.section	.bss,"aw",@nobits
	.globl	__hip_cuid_28717c972fe84cf7
__hip_cuid_28717c972fe84cf7:
	.byte	0                               ; 0x0
	.size	__hip_cuid_28717c972fe84cf7, 1

	.ident	"AMD clang version 22.0.0git (https://github.com/RadeonOpenCompute/llvm-project roc-7.2.4 26084 f58b06dce1f9c15707c5f808fd002e18c2accf7e)"
	.section	".note.GNU-stack","",@progbits
	.addrsig
	.addrsig_sym __hip_cuid_28717c972fe84cf7
	.amdgpu_metadata
---
amdhsa.kernels:
  - .args:
      - .offset:         0
        .size:           1
        .value_kind:     by_value
      - .offset:         4
        .size:           4
        .value_kind:     by_value
      - .offset:         8
        .size:           4
        .value_kind:     by_value
      - .address_space:  global
        .offset:         16
        .size:           8
        .value_kind:     global_buffer
      - .address_space:  global
        .offset:         24
        .size:           8
        .value_kind:     global_buffer
      - .offset:         32
        .size:           8
        .value_kind:     by_value
      - .offset:         40
        .size:           8
        .value_kind:     by_value
      - .offset:         48
        .size:           8
        .value_kind:     by_value
      - .address_space:  global
        .offset:         56
        .size:           8
        .value_kind:     global_buffer
      - .offset:         64
        .size:           8
        .value_kind:     by_value
      - .offset:         72
        .size:           8
        .value_kind:     by_value
      - .offset:         80
        .size:           8
        .value_kind:     by_value
      - .address_space:  global
        .offset:         88
        .size:           8
        .value_kind:     global_buffer
      - .address_space:  global
        .offset:         96
        .size:           8
        .value_kind:     global_buffer
      - .offset:         104
        .size:           8
        .value_kind:     by_value
      - .offset:         112
        .size:           8
        .value_kind:     by_value
      - .offset:         120
        .size:           8
        .value_kind:     by_value
      - .offset:         128
        .size:           4
        .value_kind:     by_value
      - .offset:         136
        .size:           4
        .value_kind:     hidden_block_count_x
      - .offset:         140
        .size:           4
        .value_kind:     hidden_block_count_y
      - .offset:         144
        .size:           4
        .value_kind:     hidden_block_count_z
      - .offset:         148
        .size:           2
        .value_kind:     hidden_group_size_x
      - .offset:         150
        .size:           2
        .value_kind:     hidden_group_size_y
      - .offset:         152
        .size:           2
        .value_kind:     hidden_group_size_z
      - .offset:         154
        .size:           2
        .value_kind:     hidden_remainder_x
      - .offset:         156
        .size:           2
        .value_kind:     hidden_remainder_y
      - .offset:         158
        .size:           2
        .value_kind:     hidden_remainder_z
      - .offset:         176
        .size:           8
        .value_kind:     hidden_global_offset_x
      - .offset:         184
        .size:           8
        .value_kind:     hidden_global_offset_y
      - .offset:         192
        .size:           8
        .value_kind:     hidden_global_offset_z
      - .offset:         200
        .size:           2
        .value_kind:     hidden_grid_dims
    .group_segment_fixed_size: 8192
    .kernarg_segment_align: 8
    .kernarg_segment_size: 392
    .language:       OpenCL C
    .language_version:
      - 2
      - 0
    .max_flat_workgroup_size: 1024
    .name:           _ZL20rocblas_hbmvn_kernelILi64ELi16EPK19rocblas_complex_numIfES3_PS1_EvbiiT1_T2_lllS6_lllS5_T3_llli
    .private_segment_fixed_size: 0
    .sgpr_count:     57
    .sgpr_spill_count: 0
    .symbol:         _ZL20rocblas_hbmvn_kernelILi64ELi16EPK19rocblas_complex_numIfES3_PS1_EvbiiT1_T2_lllS6_lllS5_T3_llli.kd
    .uniform_work_group_size: 1
    .uses_dynamic_stack: false
    .vgpr_count:     25
    .vgpr_spill_count: 0
    .wavefront_size: 64
  - .args:
      - .offset:         0
        .size:           1
        .value_kind:     by_value
      - .offset:         4
        .size:           4
        .value_kind:     by_value
      - .offset:         8
        .size:           4
        .value_kind:     by_value
      - .offset:         12
        .size:           8
        .value_kind:     by_value
      - .address_space:  global
        .offset:         24
        .size:           8
        .value_kind:     global_buffer
      - .offset:         32
        .size:           8
        .value_kind:     by_value
      - .offset:         40
        .size:           8
        .value_kind:     by_value
      - .offset:         48
        .size:           8
        .value_kind:     by_value
      - .address_space:  global
        .offset:         56
        .size:           8
        .value_kind:     global_buffer
      - .offset:         64
        .size:           8
        .value_kind:     by_value
      - .offset:         72
        .size:           8
        .value_kind:     by_value
      - .offset:         80
        .size:           8
        .value_kind:     by_value
      - .offset:         88
        .size:           8
        .value_kind:     by_value
      - .address_space:  global
        .offset:         96
        .size:           8
        .value_kind:     global_buffer
      - .offset:         104
        .size:           8
        .value_kind:     by_value
      - .offset:         112
        .size:           8
        .value_kind:     by_value
      - .offset:         120
        .size:           8
        .value_kind:     by_value
      - .offset:         128
        .size:           4
        .value_kind:     by_value
      - .offset:         136
        .size:           4
        .value_kind:     hidden_block_count_x
      - .offset:         140
        .size:           4
        .value_kind:     hidden_block_count_y
      - .offset:         144
        .size:           4
        .value_kind:     hidden_block_count_z
      - .offset:         148
        .size:           2
        .value_kind:     hidden_group_size_x
      - .offset:         150
        .size:           2
        .value_kind:     hidden_group_size_y
      - .offset:         152
        .size:           2
        .value_kind:     hidden_group_size_z
      - .offset:         154
        .size:           2
        .value_kind:     hidden_remainder_x
      - .offset:         156
        .size:           2
        .value_kind:     hidden_remainder_y
      - .offset:         158
        .size:           2
        .value_kind:     hidden_remainder_z
      - .offset:         176
        .size:           8
        .value_kind:     hidden_global_offset_x
      - .offset:         184
        .size:           8
        .value_kind:     hidden_global_offset_y
      - .offset:         192
        .size:           8
        .value_kind:     hidden_global_offset_z
      - .offset:         200
        .size:           2
        .value_kind:     hidden_grid_dims
    .group_segment_fixed_size: 8192
    .kernarg_segment_align: 8
    .kernarg_segment_size: 392
    .language:       OpenCL C
    .language_version:
      - 2
      - 0
    .max_flat_workgroup_size: 1024
    .name:           _ZL20rocblas_hbmvn_kernelILi64ELi16E19rocblas_complex_numIfEPKS1_PS1_EvbiiT1_T2_lllS6_lllS5_T3_llli
    .private_segment_fixed_size: 0
    .sgpr_count:     51
    .sgpr_spill_count: 0
    .symbol:         _ZL20rocblas_hbmvn_kernelILi64ELi16E19rocblas_complex_numIfEPKS1_PS1_EvbiiT1_T2_lllS6_lllS5_T3_llli.kd
    .uniform_work_group_size: 1
    .uses_dynamic_stack: false
    .vgpr_count:     25
    .vgpr_spill_count: 0
    .wavefront_size: 64
  - .args:
      - .offset:         0
        .size:           1
        .value_kind:     by_value
      - .offset:         4
        .size:           4
        .value_kind:     by_value
      - .offset:         8
        .size:           4
        .value_kind:     by_value
      - .address_space:  global
        .offset:         16
        .size:           8
        .value_kind:     global_buffer
      - .address_space:  global
        .offset:         24
        .size:           8
        .value_kind:     global_buffer
      - .offset:         32
        .size:           8
        .value_kind:     by_value
      - .offset:         40
        .size:           8
        .value_kind:     by_value
      - .offset:         48
        .size:           8
        .value_kind:     by_value
      - .address_space:  global
        .offset:         56
        .size:           8
        .value_kind:     global_buffer
      - .offset:         64
        .size:           8
        .value_kind:     by_value
      - .offset:         72
        .size:           8
        .value_kind:     by_value
      - .offset:         80
        .size:           8
        .value_kind:     by_value
      - .address_space:  global
        .offset:         88
        .size:           8
        .value_kind:     global_buffer
      - .address_space:  global
        .offset:         96
        .size:           8
        .value_kind:     global_buffer
      - .offset:         104
        .size:           8
        .value_kind:     by_value
      - .offset:         112
        .size:           8
        .value_kind:     by_value
      - .offset:         120
        .size:           8
        .value_kind:     by_value
      - .offset:         128
        .size:           4
        .value_kind:     by_value
      - .offset:         136
        .size:           4
        .value_kind:     hidden_block_count_x
      - .offset:         140
        .size:           4
        .value_kind:     hidden_block_count_y
      - .offset:         144
        .size:           4
        .value_kind:     hidden_block_count_z
      - .offset:         148
        .size:           2
        .value_kind:     hidden_group_size_x
      - .offset:         150
        .size:           2
        .value_kind:     hidden_group_size_y
      - .offset:         152
        .size:           2
        .value_kind:     hidden_group_size_z
      - .offset:         154
        .size:           2
        .value_kind:     hidden_remainder_x
      - .offset:         156
        .size:           2
        .value_kind:     hidden_remainder_y
      - .offset:         158
        .size:           2
        .value_kind:     hidden_remainder_z
      - .offset:         176
        .size:           8
        .value_kind:     hidden_global_offset_x
      - .offset:         184
        .size:           8
        .value_kind:     hidden_global_offset_y
      - .offset:         192
        .size:           8
        .value_kind:     hidden_global_offset_z
      - .offset:         200
        .size:           2
        .value_kind:     hidden_grid_dims
    .group_segment_fixed_size: 16384
    .kernarg_segment_align: 8
    .kernarg_segment_size: 392
    .language:       OpenCL C
    .language_version:
      - 2
      - 0
    .max_flat_workgroup_size: 1024
    .name:           _ZL20rocblas_hbmvn_kernelILi64ELi16EPK19rocblas_complex_numIdES3_PS1_EvbiiT1_T2_lllS6_lllS5_T3_llli
    .private_segment_fixed_size: 0
    .sgpr_count:     62
    .sgpr_spill_count: 0
    .symbol:         _ZL20rocblas_hbmvn_kernelILi64ELi16EPK19rocblas_complex_numIdES3_PS1_EvbiiT1_T2_lllS6_lllS5_T3_llli.kd
    .uniform_work_group_size: 1
    .uses_dynamic_stack: false
    .vgpr_count:     32
    .vgpr_spill_count: 0
    .wavefront_size: 64
  - .args:
      - .offset:         0
        .size:           1
        .value_kind:     by_value
      - .offset:         4
        .size:           4
        .value_kind:     by_value
      - .offset:         8
        .size:           4
        .value_kind:     by_value
      - .offset:         16
        .size:           16
        .value_kind:     by_value
      - .address_space:  global
        .offset:         32
        .size:           8
        .value_kind:     global_buffer
      - .offset:         40
        .size:           8
        .value_kind:     by_value
      - .offset:         48
        .size:           8
        .value_kind:     by_value
      - .offset:         56
        .size:           8
        .value_kind:     by_value
      - .address_space:  global
        .offset:         64
        .size:           8
        .value_kind:     global_buffer
      - .offset:         72
        .size:           8
        .value_kind:     by_value
      - .offset:         80
        .size:           8
        .value_kind:     by_value
      - .offset:         88
        .size:           8
        .value_kind:     by_value
      - .offset:         96
        .size:           16
        .value_kind:     by_value
      - .address_space:  global
        .offset:         112
        .size:           8
        .value_kind:     global_buffer
      - .offset:         120
        .size:           8
        .value_kind:     by_value
      - .offset:         128
        .size:           8
        .value_kind:     by_value
      - .offset:         136
        .size:           8
        .value_kind:     by_value
      - .offset:         144
        .size:           4
        .value_kind:     by_value
      - .offset:         152
        .size:           4
        .value_kind:     hidden_block_count_x
      - .offset:         156
        .size:           4
        .value_kind:     hidden_block_count_y
      - .offset:         160
        .size:           4
        .value_kind:     hidden_block_count_z
      - .offset:         164
        .size:           2
        .value_kind:     hidden_group_size_x
      - .offset:         166
        .size:           2
        .value_kind:     hidden_group_size_y
      - .offset:         168
        .size:           2
        .value_kind:     hidden_group_size_z
      - .offset:         170
        .size:           2
        .value_kind:     hidden_remainder_x
      - .offset:         172
        .size:           2
        .value_kind:     hidden_remainder_y
      - .offset:         174
        .size:           2
        .value_kind:     hidden_remainder_z
      - .offset:         192
        .size:           8
        .value_kind:     hidden_global_offset_x
      - .offset:         200
        .size:           8
        .value_kind:     hidden_global_offset_y
      - .offset:         208
        .size:           8
        .value_kind:     hidden_global_offset_z
      - .offset:         216
        .size:           2
        .value_kind:     hidden_grid_dims
    .group_segment_fixed_size: 16384
    .kernarg_segment_align: 8
    .kernarg_segment_size: 408
    .language:       OpenCL C
    .language_version:
      - 2
      - 0
    .max_flat_workgroup_size: 1024
    .name:           _ZL20rocblas_hbmvn_kernelILi64ELi16E19rocblas_complex_numIdEPKS1_PS1_EvbiiT1_T2_lllS6_lllS5_T3_llli
    .private_segment_fixed_size: 0
    .sgpr_count:     62
    .sgpr_spill_count: 0
    .symbol:         _ZL20rocblas_hbmvn_kernelILi64ELi16E19rocblas_complex_numIdEPKS1_PS1_EvbiiT1_T2_lllS6_lllS5_T3_llli.kd
    .uniform_work_group_size: 1
    .uses_dynamic_stack: false
    .vgpr_count:     32
    .vgpr_spill_count: 0
    .wavefront_size: 64
  - .args:
      - .offset:         0
        .size:           1
        .value_kind:     by_value
      - .offset:         4
        .size:           4
        .value_kind:     by_value
      - .offset:         8
        .size:           4
        .value_kind:     by_value
      - .address_space:  global
        .offset:         16
        .size:           8
        .value_kind:     global_buffer
      - .address_space:  global
        .offset:         24
        .size:           8
        .value_kind:     global_buffer
      - .offset:         32
        .size:           8
        .value_kind:     by_value
      - .offset:         40
        .size:           8
        .value_kind:     by_value
      - .offset:         48
        .size:           8
        .value_kind:     by_value
      - .address_space:  global
        .offset:         56
        .size:           8
        .value_kind:     global_buffer
      - .offset:         64
        .size:           8
        .value_kind:     by_value
      - .offset:         72
        .size:           8
        .value_kind:     by_value
      - .offset:         80
        .size:           8
        .value_kind:     by_value
      - .address_space:  global
        .offset:         88
        .size:           8
        .value_kind:     global_buffer
      - .address_space:  global
        .offset:         96
        .size:           8
        .value_kind:     global_buffer
      - .offset:         104
        .size:           8
        .value_kind:     by_value
      - .offset:         112
        .size:           8
        .value_kind:     by_value
      - .offset:         120
        .size:           8
        .value_kind:     by_value
      - .offset:         128
        .size:           4
        .value_kind:     by_value
      - .offset:         136
        .size:           4
        .value_kind:     hidden_block_count_x
      - .offset:         140
        .size:           4
        .value_kind:     hidden_block_count_y
      - .offset:         144
        .size:           4
        .value_kind:     hidden_block_count_z
      - .offset:         148
        .size:           2
        .value_kind:     hidden_group_size_x
      - .offset:         150
        .size:           2
        .value_kind:     hidden_group_size_y
      - .offset:         152
        .size:           2
        .value_kind:     hidden_group_size_z
      - .offset:         154
        .size:           2
        .value_kind:     hidden_remainder_x
      - .offset:         156
        .size:           2
        .value_kind:     hidden_remainder_y
      - .offset:         158
        .size:           2
        .value_kind:     hidden_remainder_z
      - .offset:         176
        .size:           8
        .value_kind:     hidden_global_offset_x
      - .offset:         184
        .size:           8
        .value_kind:     hidden_global_offset_y
      - .offset:         192
        .size:           8
        .value_kind:     hidden_global_offset_z
      - .offset:         200
        .size:           2
        .value_kind:     hidden_grid_dims
    .group_segment_fixed_size: 8192
    .kernarg_segment_align: 8
    .kernarg_segment_size: 392
    .language:       OpenCL C
    .language_version:
      - 2
      - 0
    .max_flat_workgroup_size: 1024
    .name:           _ZL20rocblas_hbmvn_kernelILi64ELi16EPK19rocblas_complex_numIfEPKS3_PKPS1_EvbiiT1_T2_lllSA_lllS9_T3_llli
    .private_segment_fixed_size: 0
    .sgpr_count:     56
    .sgpr_spill_count: 0
    .symbol:         _ZL20rocblas_hbmvn_kernelILi64ELi16EPK19rocblas_complex_numIfEPKS3_PKPS1_EvbiiT1_T2_lllSA_lllS9_T3_llli.kd
    .uniform_work_group_size: 1
    .uses_dynamic_stack: false
    .vgpr_count:     25
    .vgpr_spill_count: 0
    .wavefront_size: 64
  - .args:
      - .offset:         0
        .size:           1
        .value_kind:     by_value
      - .offset:         4
        .size:           4
        .value_kind:     by_value
      - .offset:         8
        .size:           4
        .value_kind:     by_value
      - .offset:         12
        .size:           8
        .value_kind:     by_value
      - .address_space:  global
        .offset:         24
        .size:           8
        .value_kind:     global_buffer
      - .offset:         32
        .size:           8
        .value_kind:     by_value
      - .offset:         40
        .size:           8
        .value_kind:     by_value
      - .offset:         48
        .size:           8
        .value_kind:     by_value
      - .address_space:  global
        .offset:         56
        .size:           8
        .value_kind:     global_buffer
      - .offset:         64
        .size:           8
        .value_kind:     by_value
      - .offset:         72
        .size:           8
        .value_kind:     by_value
      - .offset:         80
        .size:           8
        .value_kind:     by_value
      - .offset:         88
        .size:           8
        .value_kind:     by_value
      - .address_space:  global
        .offset:         96
        .size:           8
        .value_kind:     global_buffer
      - .offset:         104
        .size:           8
        .value_kind:     by_value
      - .offset:         112
        .size:           8
        .value_kind:     by_value
      - .offset:         120
        .size:           8
        .value_kind:     by_value
      - .offset:         128
        .size:           4
        .value_kind:     by_value
      - .offset:         136
        .size:           4
        .value_kind:     hidden_block_count_x
      - .offset:         140
        .size:           4
        .value_kind:     hidden_block_count_y
      - .offset:         144
        .size:           4
        .value_kind:     hidden_block_count_z
      - .offset:         148
        .size:           2
        .value_kind:     hidden_group_size_x
      - .offset:         150
        .size:           2
        .value_kind:     hidden_group_size_y
      - .offset:         152
        .size:           2
        .value_kind:     hidden_group_size_z
      - .offset:         154
        .size:           2
        .value_kind:     hidden_remainder_x
      - .offset:         156
        .size:           2
        .value_kind:     hidden_remainder_y
      - .offset:         158
        .size:           2
        .value_kind:     hidden_remainder_z
      - .offset:         176
        .size:           8
        .value_kind:     hidden_global_offset_x
      - .offset:         184
        .size:           8
        .value_kind:     hidden_global_offset_y
      - .offset:         192
        .size:           8
        .value_kind:     hidden_global_offset_z
      - .offset:         200
        .size:           2
        .value_kind:     hidden_grid_dims
    .group_segment_fixed_size: 8192
    .kernarg_segment_align: 8
    .kernarg_segment_size: 392
    .language:       OpenCL C
    .language_version:
      - 2
      - 0
    .max_flat_workgroup_size: 1024
    .name:           _ZL20rocblas_hbmvn_kernelILi64ELi16E19rocblas_complex_numIfEPKPKS1_PKPS1_EvbiiT1_T2_lllSA_lllS9_T3_llli
    .private_segment_fixed_size: 0
    .sgpr_count:     54
    .sgpr_spill_count: 0
    .symbol:         _ZL20rocblas_hbmvn_kernelILi64ELi16E19rocblas_complex_numIfEPKPKS1_PKPS1_EvbiiT1_T2_lllSA_lllS9_T3_llli.kd
    .uniform_work_group_size: 1
    .uses_dynamic_stack: false
    .vgpr_count:     25
    .vgpr_spill_count: 0
    .wavefront_size: 64
  - .args:
      - .offset:         0
        .size:           1
        .value_kind:     by_value
      - .offset:         4
        .size:           4
        .value_kind:     by_value
      - .offset:         8
        .size:           4
        .value_kind:     by_value
      - .address_space:  global
        .offset:         16
        .size:           8
        .value_kind:     global_buffer
      - .address_space:  global
        .offset:         24
        .size:           8
        .value_kind:     global_buffer
      - .offset:         32
        .size:           8
        .value_kind:     by_value
      - .offset:         40
        .size:           8
        .value_kind:     by_value
      - .offset:         48
        .size:           8
        .value_kind:     by_value
      - .address_space:  global
        .offset:         56
        .size:           8
        .value_kind:     global_buffer
      - .offset:         64
        .size:           8
        .value_kind:     by_value
      - .offset:         72
        .size:           8
        .value_kind:     by_value
      - .offset:         80
        .size:           8
        .value_kind:     by_value
      - .address_space:  global
        .offset:         88
        .size:           8
        .value_kind:     global_buffer
      - .address_space:  global
        .offset:         96
        .size:           8
        .value_kind:     global_buffer
      - .offset:         104
        .size:           8
        .value_kind:     by_value
      - .offset:         112
        .size:           8
        .value_kind:     by_value
      - .offset:         120
        .size:           8
        .value_kind:     by_value
      - .offset:         128
        .size:           4
        .value_kind:     by_value
      - .offset:         136
        .size:           4
        .value_kind:     hidden_block_count_x
      - .offset:         140
        .size:           4
        .value_kind:     hidden_block_count_y
      - .offset:         144
        .size:           4
        .value_kind:     hidden_block_count_z
      - .offset:         148
        .size:           2
        .value_kind:     hidden_group_size_x
      - .offset:         150
        .size:           2
        .value_kind:     hidden_group_size_y
      - .offset:         152
        .size:           2
        .value_kind:     hidden_group_size_z
      - .offset:         154
        .size:           2
        .value_kind:     hidden_remainder_x
      - .offset:         156
        .size:           2
        .value_kind:     hidden_remainder_y
      - .offset:         158
        .size:           2
        .value_kind:     hidden_remainder_z
      - .offset:         176
        .size:           8
        .value_kind:     hidden_global_offset_x
      - .offset:         184
        .size:           8
        .value_kind:     hidden_global_offset_y
      - .offset:         192
        .size:           8
        .value_kind:     hidden_global_offset_z
      - .offset:         200
        .size:           2
        .value_kind:     hidden_grid_dims
    .group_segment_fixed_size: 16384
    .kernarg_segment_align: 8
    .kernarg_segment_size: 392
    .language:       OpenCL C
    .language_version:
      - 2
      - 0
    .max_flat_workgroup_size: 1024
    .name:           _ZL20rocblas_hbmvn_kernelILi64ELi16EPK19rocblas_complex_numIdEPKS3_PKPS1_EvbiiT1_T2_lllSA_lllS9_T3_llli
    .private_segment_fixed_size: 0
    .sgpr_count:     60
    .sgpr_spill_count: 0
    .symbol:         _ZL20rocblas_hbmvn_kernelILi64ELi16EPK19rocblas_complex_numIdEPKS3_PKPS1_EvbiiT1_T2_lllSA_lllS9_T3_llli.kd
    .uniform_work_group_size: 1
    .uses_dynamic_stack: false
    .vgpr_count:     31
    .vgpr_spill_count: 0
    .wavefront_size: 64
  - .args:
      - .offset:         0
        .size:           1
        .value_kind:     by_value
      - .offset:         4
        .size:           4
        .value_kind:     by_value
      - .offset:         8
        .size:           4
        .value_kind:     by_value
      - .offset:         16
        .size:           16
        .value_kind:     by_value
      - .address_space:  global
        .offset:         32
        .size:           8
        .value_kind:     global_buffer
      - .offset:         40
        .size:           8
        .value_kind:     by_value
      - .offset:         48
        .size:           8
        .value_kind:     by_value
      - .offset:         56
        .size:           8
        .value_kind:     by_value
      - .address_space:  global
        .offset:         64
        .size:           8
        .value_kind:     global_buffer
      - .offset:         72
        .size:           8
        .value_kind:     by_value
      - .offset:         80
        .size:           8
        .value_kind:     by_value
      - .offset:         88
        .size:           8
        .value_kind:     by_value
      - .offset:         96
        .size:           16
        .value_kind:     by_value
      - .address_space:  global
        .offset:         112
        .size:           8
        .value_kind:     global_buffer
      - .offset:         120
        .size:           8
        .value_kind:     by_value
      - .offset:         128
        .size:           8
        .value_kind:     by_value
      - .offset:         136
        .size:           8
        .value_kind:     by_value
      - .offset:         144
        .size:           4
        .value_kind:     by_value
      - .offset:         152
        .size:           4
        .value_kind:     hidden_block_count_x
      - .offset:         156
        .size:           4
        .value_kind:     hidden_block_count_y
      - .offset:         160
        .size:           4
        .value_kind:     hidden_block_count_z
      - .offset:         164
        .size:           2
        .value_kind:     hidden_group_size_x
      - .offset:         166
        .size:           2
        .value_kind:     hidden_group_size_y
      - .offset:         168
        .size:           2
        .value_kind:     hidden_group_size_z
      - .offset:         170
        .size:           2
        .value_kind:     hidden_remainder_x
      - .offset:         172
        .size:           2
        .value_kind:     hidden_remainder_y
      - .offset:         174
        .size:           2
        .value_kind:     hidden_remainder_z
      - .offset:         192
        .size:           8
        .value_kind:     hidden_global_offset_x
      - .offset:         200
        .size:           8
        .value_kind:     hidden_global_offset_y
      - .offset:         208
        .size:           8
        .value_kind:     hidden_global_offset_z
      - .offset:         216
        .size:           2
        .value_kind:     hidden_grid_dims
    .group_segment_fixed_size: 16384
    .kernarg_segment_align: 8
    .kernarg_segment_size: 408
    .language:       OpenCL C
    .language_version:
      - 2
      - 0
    .max_flat_workgroup_size: 1024
    .name:           _ZL20rocblas_hbmvn_kernelILi64ELi16E19rocblas_complex_numIdEPKPKS1_PKPS1_EvbiiT1_T2_lllSA_lllS9_T3_llli
    .private_segment_fixed_size: 0
    .sgpr_count:     60
    .sgpr_spill_count: 0
    .symbol:         _ZL20rocblas_hbmvn_kernelILi64ELi16E19rocblas_complex_numIdEPKPKS1_PKPS1_EvbiiT1_T2_lllSA_lllS9_T3_llli.kd
    .uniform_work_group_size: 1
    .uses_dynamic_stack: false
    .vgpr_count:     31
    .vgpr_spill_count: 0
    .wavefront_size: 64
amdhsa.target:   amdgcn-amd-amdhsa--gfx906
amdhsa.version:
  - 1
  - 2
...

	.end_amdgpu_metadata
